;; amdgpu-corpus repo=ROCm/rocFFT kind=compiled arch=gfx1201 opt=O3
	.text
	.amdgcn_target "amdgcn-amd-amdhsa--gfx1201"
	.amdhsa_code_object_version 6
	.protected	fft_rtc_fwd_len1176_factors_2_2_2_3_7_7_wgs_56_tpt_56_halfLds_dp_op_CI_CI_sbrr_dirReg ; -- Begin function fft_rtc_fwd_len1176_factors_2_2_2_3_7_7_wgs_56_tpt_56_halfLds_dp_op_CI_CI_sbrr_dirReg
	.globl	fft_rtc_fwd_len1176_factors_2_2_2_3_7_7_wgs_56_tpt_56_halfLds_dp_op_CI_CI_sbrr_dirReg
	.p2align	8
	.type	fft_rtc_fwd_len1176_factors_2_2_2_3_7_7_wgs_56_tpt_56_halfLds_dp_op_CI_CI_sbrr_dirReg,@function
fft_rtc_fwd_len1176_factors_2_2_2_3_7_7_wgs_56_tpt_56_halfLds_dp_op_CI_CI_sbrr_dirReg: ; @fft_rtc_fwd_len1176_factors_2_2_2_3_7_7_wgs_56_tpt_56_halfLds_dp_op_CI_CI_sbrr_dirReg
; %bb.0:
	s_clause 0x2
	s_load_b128 s[12:15], s[0:1], 0x18
	s_load_b128 s[8:11], s[0:1], 0x0
	;; [unrolled: 1-line block ×3, first 2 shown]
	v_mul_u32_u24_e32 v1, 0x493, v0
	v_mov_b32_e32 v4, 0
	v_mov_b32_e32 v5, 0
	s_wait_kmcnt 0x0
	s_load_b64 s[18:19], s[12:13], 0x0
	s_load_b64 s[16:17], s[14:15], 0x0
	v_lshrrev_b32_e32 v2, 16, v1
	v_mov_b32_e32 v1, 0
	v_cmp_lt_u64_e64 s2, s[10:11], 2
	s_delay_alu instid0(VALU_DEP_2) | instskip(NEXT) | instid1(VALU_DEP_2)
	v_dual_mov_b32 v7, v1 :: v_dual_add_nc_u32 v6, ttmp9, v2
	s_and_b32 vcc_lo, exec_lo, s2
	s_cbranch_vccnz .LBB0_8
; %bb.1:
	s_load_b64 s[2:3], s[0:1], 0x10
	v_mov_b32_e32 v4, 0
	v_mov_b32_e32 v5, 0
	s_add_nc_u64 s[20:21], s[14:15], 8
	s_add_nc_u64 s[22:23], s[12:13], 8
	s_mov_b64 s[24:25], 1
	s_delay_alu instid0(VALU_DEP_1)
	v_dual_mov_b32 v113, v5 :: v_dual_mov_b32 v112, v4
	s_wait_kmcnt 0x0
	s_add_nc_u64 s[26:27], s[2:3], 8
	s_mov_b32 s3, 0
.LBB0_2:                                ; =>This Inner Loop Header: Depth=1
	s_load_b64 s[28:29], s[26:27], 0x0
                                        ; implicit-def: $vgpr114_vgpr115
	s_mov_b32 s2, exec_lo
	s_wait_kmcnt 0x0
	v_or_b32_e32 v2, s29, v7
	s_delay_alu instid0(VALU_DEP_1)
	v_cmpx_ne_u64_e32 0, v[1:2]
	s_wait_alu 0xfffe
	s_xor_b32 s30, exec_lo, s2
	s_cbranch_execz .LBB0_4
; %bb.3:                                ;   in Loop: Header=BB0_2 Depth=1
	s_cvt_f32_u32 s2, s28
	s_cvt_f32_u32 s31, s29
	s_sub_nc_u64 s[36:37], 0, s[28:29]
	s_wait_alu 0xfffe
	s_delay_alu instid0(SALU_CYCLE_1) | instskip(SKIP_1) | instid1(SALU_CYCLE_2)
	s_fmamk_f32 s2, s31, 0x4f800000, s2
	s_wait_alu 0xfffe
	v_s_rcp_f32 s2, s2
	s_delay_alu instid0(TRANS32_DEP_1) | instskip(SKIP_1) | instid1(SALU_CYCLE_2)
	s_mul_f32 s2, s2, 0x5f7ffffc
	s_wait_alu 0xfffe
	s_mul_f32 s31, s2, 0x2f800000
	s_wait_alu 0xfffe
	s_delay_alu instid0(SALU_CYCLE_2) | instskip(SKIP_1) | instid1(SALU_CYCLE_2)
	s_trunc_f32 s31, s31
	s_wait_alu 0xfffe
	s_fmamk_f32 s2, s31, 0xcf800000, s2
	s_cvt_u32_f32 s35, s31
	s_wait_alu 0xfffe
	s_delay_alu instid0(SALU_CYCLE_1) | instskip(SKIP_1) | instid1(SALU_CYCLE_2)
	s_cvt_u32_f32 s34, s2
	s_wait_alu 0xfffe
	s_mul_u64 s[38:39], s[36:37], s[34:35]
	s_wait_alu 0xfffe
	s_mul_hi_u32 s41, s34, s39
	s_mul_i32 s40, s34, s39
	s_mul_hi_u32 s2, s34, s38
	s_mul_i32 s33, s35, s38
	s_wait_alu 0xfffe
	s_add_nc_u64 s[40:41], s[2:3], s[40:41]
	s_mul_hi_u32 s31, s35, s38
	s_mul_hi_u32 s42, s35, s39
	s_add_co_u32 s2, s40, s33
	s_wait_alu 0xfffe
	s_add_co_ci_u32 s2, s41, s31
	s_mul_i32 s38, s35, s39
	s_add_co_ci_u32 s39, s42, 0
	s_wait_alu 0xfffe
	s_add_nc_u64 s[38:39], s[2:3], s[38:39]
	s_wait_alu 0xfffe
	v_add_co_u32 v2, s2, s34, s38
	s_delay_alu instid0(VALU_DEP_1) | instskip(SKIP_1) | instid1(VALU_DEP_1)
	s_cmp_lg_u32 s2, 0
	s_add_co_ci_u32 s35, s35, s39
	v_readfirstlane_b32 s34, v2
	s_wait_alu 0xfffe
	s_delay_alu instid0(VALU_DEP_1)
	s_mul_u64 s[36:37], s[36:37], s[34:35]
	s_wait_alu 0xfffe
	s_mul_hi_u32 s39, s34, s37
	s_mul_i32 s38, s34, s37
	s_mul_hi_u32 s2, s34, s36
	s_mul_i32 s33, s35, s36
	s_wait_alu 0xfffe
	s_add_nc_u64 s[38:39], s[2:3], s[38:39]
	s_mul_hi_u32 s31, s35, s36
	s_mul_hi_u32 s34, s35, s37
	s_wait_alu 0xfffe
	s_add_co_u32 s2, s38, s33
	s_add_co_ci_u32 s2, s39, s31
	s_mul_i32 s36, s35, s37
	s_add_co_ci_u32 s37, s34, 0
	s_wait_alu 0xfffe
	s_add_nc_u64 s[36:37], s[2:3], s[36:37]
	s_wait_alu 0xfffe
	v_add_co_u32 v8, s2, v2, s36
	s_delay_alu instid0(VALU_DEP_1) | instskip(SKIP_1) | instid1(VALU_DEP_1)
	s_cmp_lg_u32 s2, 0
	s_add_co_ci_u32 s2, s35, s37
	v_mul_hi_u32 v12, v6, v8
	s_wait_alu 0xfffe
	v_mad_co_u64_u32 v[2:3], null, v6, s2, 0
	v_mad_co_u64_u32 v[8:9], null, v7, v8, 0
	;; [unrolled: 1-line block ×3, first 2 shown]
	s_delay_alu instid0(VALU_DEP_3) | instskip(SKIP_1) | instid1(VALU_DEP_4)
	v_add_co_u32 v2, vcc_lo, v12, v2
	s_wait_alu 0xfffd
	v_add_co_ci_u32_e32 v3, vcc_lo, 0, v3, vcc_lo
	s_delay_alu instid0(VALU_DEP_2) | instskip(SKIP_1) | instid1(VALU_DEP_2)
	v_add_co_u32 v2, vcc_lo, v2, v8
	s_wait_alu 0xfffd
	v_add_co_ci_u32_e32 v2, vcc_lo, v3, v9, vcc_lo
	s_wait_alu 0xfffd
	v_add_co_ci_u32_e32 v3, vcc_lo, 0, v11, vcc_lo
	s_delay_alu instid0(VALU_DEP_2) | instskip(SKIP_1) | instid1(VALU_DEP_2)
	v_add_co_u32 v8, vcc_lo, v2, v10
	s_wait_alu 0xfffd
	v_add_co_ci_u32_e32 v9, vcc_lo, 0, v3, vcc_lo
	s_delay_alu instid0(VALU_DEP_2) | instskip(SKIP_1) | instid1(VALU_DEP_3)
	v_mul_lo_u32 v10, s29, v8
	v_mad_co_u64_u32 v[2:3], null, s28, v8, 0
	v_mul_lo_u32 v11, s28, v9
	s_delay_alu instid0(VALU_DEP_2) | instskip(NEXT) | instid1(VALU_DEP_2)
	v_sub_co_u32 v2, vcc_lo, v6, v2
	v_add3_u32 v3, v3, v11, v10
	s_delay_alu instid0(VALU_DEP_1) | instskip(SKIP_1) | instid1(VALU_DEP_1)
	v_sub_nc_u32_e32 v10, v7, v3
	s_wait_alu 0xfffd
	v_subrev_co_ci_u32_e64 v10, s2, s29, v10, vcc_lo
	v_add_co_u32 v11, s2, v8, 2
	s_wait_alu 0xf1ff
	v_add_co_ci_u32_e64 v12, s2, 0, v9, s2
	v_sub_co_u32 v13, s2, v2, s28
	v_sub_co_ci_u32_e32 v3, vcc_lo, v7, v3, vcc_lo
	s_wait_alu 0xf1ff
	v_subrev_co_ci_u32_e64 v10, s2, 0, v10, s2
	s_delay_alu instid0(VALU_DEP_3) | instskip(NEXT) | instid1(VALU_DEP_3)
	v_cmp_le_u32_e32 vcc_lo, s28, v13
	v_cmp_eq_u32_e64 s2, s29, v3
	s_wait_alu 0xfffd
	v_cndmask_b32_e64 v13, 0, -1, vcc_lo
	v_cmp_le_u32_e32 vcc_lo, s29, v10
	s_wait_alu 0xfffd
	v_cndmask_b32_e64 v14, 0, -1, vcc_lo
	v_cmp_le_u32_e32 vcc_lo, s28, v2
	;; [unrolled: 3-line block ×3, first 2 shown]
	s_wait_alu 0xfffd
	v_cndmask_b32_e64 v15, 0, -1, vcc_lo
	v_cmp_eq_u32_e32 vcc_lo, s29, v10
	s_wait_alu 0xf1ff
	s_delay_alu instid0(VALU_DEP_2)
	v_cndmask_b32_e64 v2, v15, v2, s2
	s_wait_alu 0xfffd
	v_cndmask_b32_e32 v10, v14, v13, vcc_lo
	v_add_co_u32 v13, vcc_lo, v8, 1
	s_wait_alu 0xfffd
	v_add_co_ci_u32_e32 v14, vcc_lo, 0, v9, vcc_lo
	s_delay_alu instid0(VALU_DEP_3) | instskip(SKIP_1) | instid1(VALU_DEP_2)
	v_cmp_ne_u32_e32 vcc_lo, 0, v10
	s_wait_alu 0xfffd
	v_dual_cndmask_b32 v3, v14, v12 :: v_dual_cndmask_b32 v10, v13, v11
	v_cmp_ne_u32_e32 vcc_lo, 0, v2
	s_wait_alu 0xfffd
	s_delay_alu instid0(VALU_DEP_2)
	v_dual_cndmask_b32 v115, v9, v3 :: v_dual_cndmask_b32 v114, v8, v10
.LBB0_4:                                ;   in Loop: Header=BB0_2 Depth=1
	s_wait_alu 0xfffe
	s_and_not1_saveexec_b32 s2, s30
	s_cbranch_execz .LBB0_6
; %bb.5:                                ;   in Loop: Header=BB0_2 Depth=1
	v_cvt_f32_u32_e32 v2, s28
	s_sub_co_i32 s30, 0, s28
	v_mov_b32_e32 v115, v1
	s_delay_alu instid0(VALU_DEP_2) | instskip(NEXT) | instid1(TRANS32_DEP_1)
	v_rcp_iflag_f32_e32 v2, v2
	v_mul_f32_e32 v2, 0x4f7ffffe, v2
	s_delay_alu instid0(VALU_DEP_1) | instskip(SKIP_1) | instid1(VALU_DEP_1)
	v_cvt_u32_f32_e32 v2, v2
	s_wait_alu 0xfffe
	v_mul_lo_u32 v3, s30, v2
	s_delay_alu instid0(VALU_DEP_1) | instskip(NEXT) | instid1(VALU_DEP_1)
	v_mul_hi_u32 v3, v2, v3
	v_add_nc_u32_e32 v2, v2, v3
	s_delay_alu instid0(VALU_DEP_1) | instskip(NEXT) | instid1(VALU_DEP_1)
	v_mul_hi_u32 v2, v6, v2
	v_mul_lo_u32 v3, v2, s28
	v_add_nc_u32_e32 v8, 1, v2
	s_delay_alu instid0(VALU_DEP_2) | instskip(NEXT) | instid1(VALU_DEP_1)
	v_sub_nc_u32_e32 v3, v6, v3
	v_subrev_nc_u32_e32 v9, s28, v3
	v_cmp_le_u32_e32 vcc_lo, s28, v3
	s_wait_alu 0xfffd
	s_delay_alu instid0(VALU_DEP_2) | instskip(NEXT) | instid1(VALU_DEP_1)
	v_dual_cndmask_b32 v3, v3, v9 :: v_dual_cndmask_b32 v2, v2, v8
	v_cmp_le_u32_e32 vcc_lo, s28, v3
	s_delay_alu instid0(VALU_DEP_2) | instskip(SKIP_1) | instid1(VALU_DEP_1)
	v_add_nc_u32_e32 v8, 1, v2
	s_wait_alu 0xfffd
	v_cndmask_b32_e32 v114, v2, v8, vcc_lo
.LBB0_6:                                ;   in Loop: Header=BB0_2 Depth=1
	s_wait_alu 0xfffe
	s_or_b32 exec_lo, exec_lo, s2
	v_mul_lo_u32 v8, v115, s28
	s_delay_alu instid0(VALU_DEP_2)
	v_mul_lo_u32 v9, v114, s29
	s_load_b64 s[30:31], s[22:23], 0x0
	v_mad_co_u64_u32 v[2:3], null, v114, s28, 0
	s_load_b64 s[28:29], s[20:21], 0x0
	s_add_nc_u64 s[24:25], s[24:25], 1
	s_add_nc_u64 s[20:21], s[20:21], 8
	s_wait_alu 0xfffe
	v_cmp_ge_u64_e64 s2, s[24:25], s[10:11]
	s_add_nc_u64 s[22:23], s[22:23], 8
	s_add_nc_u64 s[26:27], s[26:27], 8
	v_add3_u32 v3, v3, v9, v8
	v_sub_co_u32 v2, vcc_lo, v6, v2
	s_wait_alu 0xfffd
	s_delay_alu instid0(VALU_DEP_2) | instskip(SKIP_2) | instid1(VALU_DEP_1)
	v_sub_co_ci_u32_e32 v3, vcc_lo, v7, v3, vcc_lo
	s_and_b32 vcc_lo, exec_lo, s2
	s_wait_kmcnt 0x0
	v_mul_lo_u32 v6, s30, v3
	v_mul_lo_u32 v7, s31, v2
	v_mad_co_u64_u32 v[4:5], null, s30, v2, v[4:5]
	v_mul_lo_u32 v3, s28, v3
	v_mul_lo_u32 v8, s29, v2
	v_mad_co_u64_u32 v[112:113], null, s28, v2, v[112:113]
	s_delay_alu instid0(VALU_DEP_4) | instskip(NEXT) | instid1(VALU_DEP_2)
	v_add3_u32 v5, v7, v5, v6
	v_add3_u32 v113, v8, v113, v3
	s_wait_alu 0xfffe
	s_cbranch_vccnz .LBB0_9
; %bb.7:                                ;   in Loop: Header=BB0_2 Depth=1
	v_dual_mov_b32 v6, v114 :: v_dual_mov_b32 v7, v115
	s_branch .LBB0_2
.LBB0_8:
	v_dual_mov_b32 v113, v5 :: v_dual_mov_b32 v112, v4
	s_delay_alu instid0(VALU_DEP_2)
	v_dual_mov_b32 v115, v7 :: v_dual_mov_b32 v114, v6
.LBB0_9:
	s_load_b64 s[0:1], s[0:1], 0x28
	v_mul_hi_u32 v1, 0x4924925, v0
	s_lshl_b64 s[10:11], s[10:11], 3
                                        ; implicit-def: $vgpr126
                                        ; implicit-def: $vgpr120
                                        ; implicit-def: $vgpr121
                                        ; implicit-def: $vgpr129
                                        ; implicit-def: $vgpr133
                                        ; implicit-def: $vgpr134
                                        ; implicit-def: $vgpr135
                                        ; implicit-def: $vgpr116
                                        ; implicit-def: $vgpr117
                                        ; implicit-def: $vgpr118
	s_wait_alu 0xfffe
	s_add_nc_u64 s[2:3], s[14:15], s[10:11]
	s_wait_kmcnt 0x0
	v_cmp_gt_u64_e32 vcc_lo, s[0:1], v[114:115]
	v_cmp_le_u64_e64 s0, s[0:1], v[114:115]
	s_delay_alu instid0(VALU_DEP_1)
	s_and_saveexec_b32 s1, s0
	s_wait_alu 0xfffe
	s_xor_b32 s0, exec_lo, s1
; %bb.10:
	v_mul_u32_u24_e32 v1, 56, v1
                                        ; implicit-def: $vgpr4_vgpr5
	s_delay_alu instid0(VALU_DEP_1) | instskip(NEXT) | instid1(VALU_DEP_1)
	v_sub_nc_u32_e32 v126, v0, v1
                                        ; implicit-def: $vgpr1
                                        ; implicit-def: $vgpr0
	v_add_nc_u32_e32 v120, 56, v126
	v_add_nc_u32_e32 v121, 0x70, v126
	v_add_nc_u32_e32 v129, 0xa8, v126
	v_add_nc_u32_e32 v133, 0xe0, v126
	v_add_nc_u32_e32 v134, 0x118, v126
	v_add_nc_u32_e32 v135, 0x150, v126
	v_add_nc_u32_e32 v116, 0x188, v126
	v_or_b32_e32 v117, 0x1c0, v126
	v_add_nc_u32_e32 v118, 0x1f8, v126
; %bb.11:
	s_wait_alu 0xfffe
	s_or_saveexec_b32 s1, s0
	s_load_b64 s[2:3], s[2:3], 0x0
                                        ; implicit-def: $vgpr90_vgpr91
                                        ; implicit-def: $vgpr86_vgpr87
                                        ; implicit-def: $vgpr74_vgpr75
                                        ; implicit-def: $vgpr66_vgpr67
                                        ; implicit-def: $vgpr70_vgpr71
                                        ; implicit-def: $vgpr58_vgpr59
                                        ; implicit-def: $vgpr78_vgpr79
                                        ; implicit-def: $vgpr62_vgpr63
                                        ; implicit-def: $vgpr50_vgpr51
                                        ; implicit-def: $vgpr46_vgpr47
                                        ; implicit-def: $vgpr54_vgpr55
                                        ; implicit-def: $vgpr42_vgpr43
                                        ; implicit-def: $vgpr38_vgpr39
                                        ; implicit-def: $vgpr34_vgpr35
                                        ; implicit-def: $vgpr30_vgpr31
                                        ; implicit-def: $vgpr22_vgpr23
                                        ; implicit-def: $vgpr26_vgpr27
                                        ; implicit-def: $vgpr14_vgpr15
                                        ; implicit-def: $vgpr10_vgpr11
                                        ; implicit-def: $vgpr2_vgpr3
                                        ; implicit-def: $vgpr18_vgpr19
                                        ; implicit-def: $vgpr6_vgpr7
	s_xor_b32 exec_lo, exec_lo, s1
	s_cbranch_execz .LBB0_15
; %bb.12:
	s_add_nc_u64 s[10:11], s[12:13], s[10:11]
	v_mul_u32_u24_e32 v1, 56, v1
	s_load_b64 s[10:11], s[10:11], 0x0
	v_lshlrev_b64_e32 v[4:5], 4, v[4:5]
                                        ; implicit-def: $vgpr84_vgpr85
                                        ; implicit-def: $vgpr88_vgpr89
	s_delay_alu instid0(VALU_DEP_2) | instskip(NEXT) | instid1(VALU_DEP_1)
	v_sub_nc_u32_e32 v126, v0, v1
	v_add_nc_u32_e32 v14, 0x24c, v126
	v_add_nc_u32_e32 v120, 56, v126
	;; [unrolled: 1-line block ×3, first 2 shown]
	v_mad_co_u64_u32 v[0:1], null, s18, v126, 0
	s_delay_alu instid0(VALU_DEP_4) | instskip(NEXT) | instid1(VALU_DEP_4)
	v_mad_co_u64_u32 v[2:3], null, s18, v14, 0
	v_mad_co_u64_u32 v[6:7], null, s18, v120, 0
	s_delay_alu instid0(VALU_DEP_4)
	v_mad_co_u64_u32 v[8:9], null, s18, v16, 0
	s_wait_kmcnt 0x0
	v_mul_lo_u32 v15, s11, v114
	v_mul_lo_u32 v17, s10, v115
	v_mad_co_u64_u32 v[10:11], null, s10, v114, 0
	v_mad_co_u64_u32 v[12:13], null, s19, v126, v[1:2]
	v_mov_b32_e32 v1, v3
	v_mov_b32_e32 v3, v7
	v_dual_mov_b32 v7, v9 :: v_dual_add_nc_u32 v36, 0x32c, v126
	v_add3_u32 v11, v11, v17, v15
	s_delay_alu instid0(VALU_DEP_4) | instskip(NEXT) | instid1(VALU_DEP_4)
	v_mad_co_u64_u32 v[13:14], null, s19, v14, v[1:2]
	v_mad_co_u64_u32 v[14:15], null, s19, v120, v[3:4]
	s_delay_alu instid0(VALU_DEP_3)
	v_lshlrev_b64_e32 v[9:10], 4, v[10:11]
	v_mov_b32_e32 v1, v12
	v_mad_co_u64_u32 v[11:12], null, s19, v16, v[7:8]
	v_add_nc_u32_e32 v16, 0x2bc, v126
	v_add_nc_u32_e32 v121, 0x70, v126
	v_add_co_u32 v9, s0, s4, v9
	v_mad_co_u64_u32 v[32:33], null, s18, v36, 0
	v_add_nc_u32_e32 v129, 0xa8, v126
	s_wait_alu 0xf1ff
	v_add_co_ci_u32_e64 v10, s0, s5, v10, s0
	v_dual_mov_b32 v7, v14 :: v_dual_add_nc_u32 v26, 0x2f4, v126
	v_mad_co_u64_u32 v[14:15], null, s18, v16, 0
	v_mov_b32_e32 v3, v13
	v_mad_co_u64_u32 v[12:13], null, s18, v121, 0
	v_lshlrev_b64_e32 v[0:1], 4, v[0:1]
	v_add_co_u32 v80, s0, v9, v4
	v_mad_co_u64_u32 v[22:23], null, s18, v129, 0
	v_mov_b32_e32 v9, v11
	s_wait_alu 0xf1ff
	v_add_co_ci_u32_e64 v81, s0, v10, v5, s0
	v_lshlrev_b64_e32 v[2:3], 4, v[2:3]
	v_lshlrev_b64_e32 v[4:5], 4, v[6:7]
	;; [unrolled: 1-line block ×3, first 2 shown]
	v_add_co_u32 v0, s0, v80, v0
	v_mov_b32_e32 v6, v13
	s_wait_alu 0xf1ff
	v_add_co_ci_u32_e64 v1, s0, v81, v1, s0
	v_add_co_u32 v2, s0, v80, v2
	s_wait_alu 0xf1ff
	v_add_co_ci_u32_e64 v3, s0, v81, v3, s0
	v_mad_co_u64_u32 v[9:10], null, s19, v121, v[6:7]
	v_add_co_u32 v10, s0, v80, v4
	v_mov_b32_e32 v4, v15
	s_wait_alu 0xf1ff
	v_add_co_ci_u32_e64 v11, s0, v81, v5, s0
	v_add_co_u32 v20, s0, v80, v7
	s_wait_alu 0xf1ff
	v_add_co_ci_u32_e64 v21, s0, v81, v8, s0
	v_mad_co_u64_u32 v[15:16], null, s19, v16, v[4:5]
	v_dual_mov_b32 v13, v9 :: v_dual_add_nc_u32 v134, 0x118, v126
	s_clause 0x3
	global_load_b128 v[4:7], v[0:1], off
	global_load_b128 v[16:19], v[2:3], off
	;; [unrolled: 1-line block ×4, first 2 shown]
	v_dual_mov_b32 v20, v23 :: v_dual_add_nc_u32 v51, 0x3d4, v126
	v_mad_co_u64_u32 v[28:29], null, s18, v26, 0
	v_mad_co_u64_u32 v[40:41], null, s18, v134, 0
	s_delay_alu instid0(VALU_DEP_3) | instskip(SKIP_4) | instid1(VALU_DEP_4)
	v_mad_co_u64_u32 v[20:21], null, s19, v129, v[20:21]
	v_add_nc_u32_e32 v133, 0xe0, v126
	v_mad_co_u64_u32 v[58:59], null, s18, v51, 0
	v_add_nc_u32_e32 v39, 0x364, v126
	v_lshlrev_b64_e32 v[12:13], 4, v[12:13]
	v_mad_co_u64_u32 v[30:31], null, s18, v133, 0
	v_mov_b32_e32 v23, v20
	s_delay_alu instid0(VALU_DEP_4)
	v_mad_co_u64_u32 v[42:43], null, s18, v39, 0
	v_mov_b32_e32 v21, v29
	v_lshlrev_b64_e32 v[14:15], 4, v[14:15]
	v_add_co_u32 v12, s0, v80, v12
	s_wait_alu 0xf1ff
	v_add_co_ci_u32_e64 v13, s0, v81, v13, s0
	v_mad_co_u64_u32 v[20:21], null, s19, v26, v[21:22]
	v_lshlrev_b64_e32 v[22:23], 4, v[22:23]
	v_mov_b32_e32 v21, v31
	v_add_co_u32 v24, s0, v80, v14
	s_wait_alu 0xf1ff
	v_add_co_ci_u32_e64 v25, s0, v81, v15, s0
	s_delay_alu instid0(VALU_DEP_3) | instskip(SKIP_3) | instid1(VALU_DEP_3)
	v_mad_co_u64_u32 v[34:35], null, s19, v133, v[21:22]
	v_dual_mov_b32 v29, v20 :: v_dual_add_nc_u32 v116, 0x188, v126
	v_mov_b32_e32 v20, v33
	v_add_co_u32 v21, s0, v80, v22
	v_lshlrev_b64_e32 v[28:29], 4, v[28:29]
	s_delay_alu instid0(VALU_DEP_4) | instskip(SKIP_1) | instid1(VALU_DEP_4)
	v_mad_co_u64_u32 v[56:57], null, s18, v116, 0
	v_mov_b32_e32 v31, v34
	v_mad_co_u64_u32 v[33:34], null, s19, v36, v[20:21]
	s_wait_alu 0xf1ff
	v_add_co_ci_u32_e64 v22, s0, v81, v23, s0
	s_delay_alu instid0(VALU_DEP_3)
	v_lshlrev_b64_e32 v[34:35], 4, v[30:31]
	v_add_co_u32 v28, s0, v80, v28
	v_mov_b32_e32 v36, v41
	v_lshlrev_b64_e32 v[32:33], 4, v[32:33]
	s_wait_alu 0xf1ff
	v_add_co_ci_u32_e64 v29, s0, v81, v29, s0
	v_add_co_u32 v34, s0, v80, v34
	s_wait_alu 0xf1ff
	v_add_co_ci_u32_e64 v35, s0, v81, v35, s0
	v_mad_co_u64_u32 v[36:37], null, s19, v134, v[36:37]
	v_add_co_u32 v37, s0, v80, v32
	v_dual_mov_b32 v32, v43 :: v_dual_add_nc_u32 v135, 0x150, v126
	v_add_nc_u32_e32 v49, 0x39c, v126
	s_delay_alu instid0(VALU_DEP_4) | instskip(NEXT) | instid1(VALU_DEP_3)
	v_dual_mov_b32 v41, v36 :: v_dual_add_nc_u32 v70, 0x40c, v126
	v_mad_co_u64_u32 v[46:47], null, s19, v39, v[32:33]
	s_delay_alu instid0(VALU_DEP_4) | instskip(NEXT) | instid1(VALU_DEP_4)
	v_mad_co_u64_u32 v[44:45], null, s18, v135, 0
	v_mad_co_u64_u32 v[47:48], null, s18, v49, 0
	s_delay_alu instid0(VALU_DEP_4) | instskip(NEXT) | instid1(VALU_DEP_4)
	v_lshlrev_b64_e32 v[40:41], 4, v[40:41]
	v_dual_mov_b32 v43, v46 :: v_dual_add_nc_u32 v118, 0x1f8, v126
	s_wait_alu 0xf1ff
	v_add_co_ci_u32_e64 v38, s0, v81, v33, s0
	v_mad_co_u64_u32 v[45:46], null, s19, v135, v[45:46]
	v_mov_b32_e32 v46, v48
	v_lshlrev_b64_e32 v[42:43], 4, v[42:43]
	v_add_co_u32 v40, s0, v80, v40
	s_wait_alu 0xf1ff
	v_add_co_ci_u32_e64 v41, s0, v81, v41, s0
	v_mad_co_u64_u32 v[48:49], null, s19, v49, v[46:47]
	s_delay_alu instid0(VALU_DEP_4)
	v_add_co_u32 v49, s0, v80, v42
	s_wait_alu 0xf1ff
	v_add_co_ci_u32_e64 v50, s0, v81, v43, s0
	v_lshlrev_b64_e32 v[42:43], 4, v[44:45]
	v_mov_b32_e32 v44, v57
	v_lshlrev_b64_e32 v[45:46], 4, v[47:48]
	v_or_b32_e32 v117, 0x1c0, v126
	v_mad_co_u64_u32 v[67:68], null, s18, v70, 0
	v_add_co_u32 v60, s0, v80, v42
	v_mov_b32_e32 v42, v59
	v_mad_co_u64_u32 v[47:48], null, s19, v116, v[44:45]
	s_wait_alu 0xf1ff
	v_add_co_ci_u32_e64 v61, s0, v81, v43, s0
	v_add_co_u32 v62, s0, v80, v45
	v_mad_co_u64_u32 v[64:65], null, s19, v51, v[42:43]
	v_mad_co_u64_u32 v[65:66], null, s18, v117, 0
	s_wait_alu 0xf1ff
	v_add_co_ci_u32_e64 v63, s0, v81, v46, s0
	s_clause 0x5
	global_load_b128 v[12:15], v[12:13], off
	global_load_b128 v[24:27], v[24:25], off
	;; [unrolled: 1-line block ×6, first 2 shown]
	v_mov_b32_e32 v57, v47
	s_clause 0x3
	global_load_b128 v[40:43], v[40:41], off
	global_load_b128 v[52:55], v[49:50], off
	;; [unrolled: 1-line block ×4, first 2 shown]
	v_mad_co_u64_u32 v[61:62], null, s18, v118, 0
	v_dual_mov_b32 v60, v66 :: v_dual_mov_b32 v63, v68
	v_add_nc_u32_e32 v71, 0x444, v126
	v_mov_b32_e32 v59, v64
	s_mov_b32 s4, exec_lo
	s_delay_alu instid0(VALU_DEP_3) | instskip(SKIP_3) | instid1(VALU_DEP_4)
	v_mad_co_u64_u32 v[68:69], null, s19, v117, v[60:61]
	v_mad_co_u64_u32 v[63:64], null, s19, v70, v[63:64]
	;; [unrolled: 1-line block ×3, first 2 shown]
	v_mov_b32_e32 v60, v62
	v_mov_b32_e32 v66, v68
	s_delay_alu instid0(VALU_DEP_4) | instskip(NEXT) | instid1(VALU_DEP_3)
	v_mov_b32_e32 v68, v63
	v_mad_co_u64_u32 v[62:63], null, s19, v118, v[60:61]
	v_mov_b32_e32 v60, v70
	v_lshlrev_b64_e32 v[56:57], 4, v[56:57]
	v_lshlrev_b64_e32 v[63:64], 4, v[65:66]
	;; [unrolled: 1-line block ×3, first 2 shown]
	s_delay_alu instid0(VALU_DEP_4) | instskip(NEXT) | instid1(VALU_DEP_4)
	v_mad_co_u64_u32 v[65:66], null, s19, v71, v[60:61]
	v_add_co_u32 v56, s0, v80, v56
	s_wait_alu 0xf1ff
	v_add_co_ci_u32_e64 v57, s0, v81, v57, s0
	s_delay_alu instid0(VALU_DEP_4)
	v_add_co_u32 v58, s0, v80, v58
	v_lshlrev_b64_e32 v[66:67], 4, v[67:68]
	v_mov_b32_e32 v70, v65
	s_wait_alu 0xf1ff
	v_add_co_ci_u32_e64 v59, s0, v81, v59, s0
	v_add_co_u32 v71, s0, v80, v63
	v_lshlrev_b64_e32 v[60:61], 4, v[61:62]
	s_wait_alu 0xf1ff
	v_add_co_ci_u32_e64 v72, s0, v81, v64, s0
	v_add_co_u32 v64, s0, v80, v66
	v_lshlrev_b64_e32 v[62:63], 4, v[69:70]
	s_wait_alu 0xf1ff
	v_add_co_ci_u32_e64 v65, s0, v81, v67, s0
	v_add_co_u32 v66, s0, v80, v60
	s_wait_alu 0xf1ff
	v_add_co_ci_u32_e64 v67, s0, v81, v61, s0
	v_add_co_u32 v73, s0, v80, v62
	s_wait_alu 0xf1ff
	v_add_co_ci_u32_e64 v74, s0, v81, v63, s0
	s_clause 0x5
	global_load_b128 v[60:63], v[56:57], off
	global_load_b128 v[76:79], v[58:59], off
	;; [unrolled: 1-line block ×6, first 2 shown]
	v_cmpx_gt_u32_e32 28, v126
	s_cbranch_execz .LBB0_14
; %bb.13:
	v_add_nc_u32_e32 v86, 0x230, v126
	v_add_nc_u32_e32 v88, 0x47c, v126
	s_delay_alu instid0(VALU_DEP_2) | instskip(NEXT) | instid1(VALU_DEP_2)
	v_mad_co_u64_u32 v[82:83], null, s18, v86, 0
	v_mad_co_u64_u32 v[84:85], null, s18, v88, 0
	s_delay_alu instid0(VALU_DEP_1) | instskip(NEXT) | instid1(VALU_DEP_1)
	v_mad_co_u64_u32 v[86:87], null, s19, v86, v[83:84]
	v_mov_b32_e32 v83, v86
	s_delay_alu instid0(VALU_DEP_3) | instskip(NEXT) | instid1(VALU_DEP_2)
	v_mad_co_u64_u32 v[87:88], null, s19, v88, v[85:86]
	v_lshlrev_b64_e32 v[82:83], 4, v[82:83]
	s_delay_alu instid0(VALU_DEP_2) | instskip(NEXT) | instid1(VALU_DEP_2)
	v_mov_b32_e32 v85, v87
	v_add_co_u32 v82, s0, v80, v82
	s_wait_alu 0xf1ff
	s_delay_alu instid0(VALU_DEP_3) | instskip(NEXT) | instid1(VALU_DEP_3)
	v_add_co_ci_u32_e64 v83, s0, v81, v83, s0
	v_lshlrev_b64_e32 v[84:85], 4, v[84:85]
	s_delay_alu instid0(VALU_DEP_1) | instskip(SKIP_1) | instid1(VALU_DEP_2)
	v_add_co_u32 v80, s0, v80, v84
	s_wait_alu 0xf1ff
	v_add_co_ci_u32_e64 v81, s0, v81, v85, s0
	s_clause 0x1
	global_load_b128 v[84:87], v[82:83], off
	global_load_b128 v[88:91], v[80:81], off
.LBB0_14:
	s_wait_alu 0xfffe
	s_or_b32 exec_lo, exec_lo, s4
.LBB0_15:
	s_delay_alu instid0(SALU_CYCLE_1)
	s_or_b32 exec_lo, exec_lo, s1
	s_wait_loadcnt 0x12
	v_add_f64_e64 v[94:95], v[4:5], -v[16:17]
	s_wait_loadcnt 0x0
	v_add_f64_e64 v[82:83], v[84:85], -v[88:89]
	v_add_f64_e64 v[98:99], v[0:1], -v[8:9]
	;; [unrolled: 1-line block ×10, first 2 shown]
	v_lshl_add_u32 v29, v120, 4, 0
	v_lshl_add_u32 v37, v129, 4, 0
	;; [unrolled: 1-line block ×4, first 2 shown]
	v_cmp_gt_u32_e64 s0, 28, v126
	v_fma_f64 v[92:93], v[4:5], 2.0, -v[94:95]
	v_fma_f64 v[80:81], v[84:85], 2.0, -v[82:83]
	;; [unrolled: 1-line block ×11, first 2 shown]
	v_add_nc_u32_e32 v84, 0x230, v126
	v_lshl_add_u32 v33, v126, 4, 0
	v_lshl_add_u32 v32, v121, 4, 0
	;; [unrolled: 1-line block ×7, first 2 shown]
	ds_store_b128 v33, v[92:95]
	ds_store_b128 v29, v[96:99]
	ds_store_b128 v32, v[100:103]
	ds_store_b128 v37, v[104:107]
	ds_store_b128 v36, v[108:111]
	ds_store_b128 v41, v[122:125]
	ds_store_b128 v40, v[136:139]
	ds_store_b128 v48, v[140:143]
	ds_store_b128 v45, v[144:147]
	ds_store_b128 v44, v[148:151]
	s_and_saveexec_b32 s1, s0
	s_cbranch_execz .LBB0_17
; %bb.16:
	ds_store_b128 v28, v[80:83]
.LBB0_17:
	s_wait_alu 0xfffe
	s_or_b32 exec_lo, exec_lo, s1
	v_lshl_add_u32 v128, v126, 3, 0
	v_lshlrev_b32_e32 v49, 3, v121
	v_lshlrev_b32_e32 v68, 3, v129
	;; [unrolled: 1-line block ×3, first 2 shown]
	v_lshl_add_u32 v127, v120, 3, 0
	v_add_nc_u32_e32 v0, 0x1000, v128
	v_lshlrev_b32_e32 v72, 3, v134
	v_sub_nc_u32_e32 v4, v32, v49
	v_lshlrev_b32_e32 v73, 3, v135
	v_sub_nc_u32_e32 v5, v37, v68
	v_lshlrev_b32_e32 v76, 3, v116
	v_lshlrev_b32_e32 v77, 3, v117
	;; [unrolled: 1-line block ×3, first 2 shown]
	global_wb scope:SCOPE_SE
	s_wait_dscnt 0x0
	s_wait_kmcnt 0x0
	s_barrier_signal -1
	s_barrier_wait -1
	global_inv scope:SCOPE_SE
	ds_load_2addr_b64 v[96:99], v0 offset0:76 offset1:132
	ds_load_2addr_b64 v[92:95], v0 offset0:188 offset1:244
	v_add_nc_u32_e32 v20, 0x1800, v128
	ds_load_b64 v[0:1], v128
	ds_load_b64 v[8:9], v127
	ds_load_b64 v[12:13], v4
	ds_load_b64 v[16:17], v5
	v_sub_nc_u32_e32 v4, v36, v69
	v_sub_nc_u32_e32 v5, v41, v72
	;; [unrolled: 1-line block ×5, first 2 shown]
	v_add_nc_u32_e32 v61, 0x2000, v128
	v_sub_nc_u32_e32 v64, v44, v85
	ds_load_2addr_b64 v[100:103], v20 offset0:44 offset1:100
	ds_load_2addr_b64 v[104:107], v20 offset0:156 offset1:212
	ds_load_b64 v[20:21], v4
	ds_load_b64 v[24:25], v5
	;; [unrolled: 1-line block ×4, first 2 shown]
	ds_load_2addr_b64 v[108:111], v61 offset0:12 offset1:68
	ds_load_b64 v[60:61], v60
	ds_load_b64 v[64:65], v64
	s_and_saveexec_b32 s1, s0
	s_cbranch_execz .LBB0_19
; %bb.18:
	ds_load_b64 v[80:81], v128 offset:4480
	ds_load_b64 v[82:83], v128 offset:9184
.LBB0_19:
	s_wait_alu 0xfffe
	s_or_b32 exec_lo, exec_lo, s1
	v_add_f64_e64 v[124:125], v[6:7], -v[18:19]
	v_add_f64_e64 v[138:139], v[2:3], -v[10:11]
	;; [unrolled: 1-line block ×11, first 2 shown]
	v_sub_nc_u32_e32 v19, 0, v49
	v_sub_nc_u32_e32 v18, 0, v68
	;; [unrolled: 1-line block ×4, first 2 shown]
	global_wb scope:SCOPE_SE
	s_wait_dscnt 0x0
	s_barrier_signal -1
	s_barrier_wait -1
	global_inv scope:SCOPE_SE
	v_fma_f64 v[122:123], v[6:7], 2.0, -v[124:125]
	v_fma_f64 v[136:137], v[2:3], 2.0, -v[138:139]
	;; [unrolled: 1-line block ×11, first 2 shown]
	v_sub_nc_u32_e32 v15, 0, v69
	v_sub_nc_u32_e32 v14, 0, v72
	;; [unrolled: 1-line block ×4, first 2 shown]
	ds_store_b128 v33, v[122:125]
	ds_store_b128 v29, v[136:139]
	;; [unrolled: 1-line block ×10, first 2 shown]
	s_and_saveexec_b32 s1, s0
	s_cbranch_execz .LBB0_21
; %bb.20:
	ds_store_b128 v28, v[2:5]
.LBB0_21:
	s_wait_alu 0xfffe
	s_or_b32 exec_lo, exec_lo, s1
	v_add_nc_u32_e32 v22, 0x1000, v128
	v_add_nc_u32_e32 v125, v37, v18
	;; [unrolled: 1-line block ×10, first 2 shown]
	global_wb scope:SCOPE_SE
	s_wait_dscnt 0x0
	s_barrier_signal -1
	s_barrier_wait -1
	global_inv scope:SCOPE_SE
	ds_load_2addr_b64 v[26:29], v22 offset0:76 offset1:132
	ds_load_2addr_b64 v[30:33], v22 offset0:188 offset1:244
	ds_load_b64 v[54:55], v128
	ds_load_b64 v[58:59], v127
	;; [unrolled: 1-line block ×4, first 2 shown]
	ds_load_2addr_b64 v[34:37], v18 offset0:44 offset1:100
	ds_load_2addr_b64 v[38:41], v18 offset0:156 offset1:212
	v_add_nc_u32_e32 v123, v44, v6
	ds_load_b64 v[68:69], v137
	ds_load_b64 v[70:71], v136
	;; [unrolled: 1-line block ×4, first 2 shown]
	ds_load_2addr_b64 v[42:45], v7 offset0:12 offset1:68
	ds_load_b64 v[76:77], v147
	ds_load_b64 v[78:79], v123
	v_lshlrev_b32_e32 v146, 1, v126
	v_lshlrev_b32_e32 v145, 1, v120
	v_lshlrev_b32_e32 v144, 1, v121
	v_lshlrev_b32_e32 v143, 1, v129
	v_lshlrev_b32_e32 v142, 1, v133
	v_lshlrev_b32_e32 v141, 1, v134
	v_lshlrev_b32_e32 v140, 1, v135
	v_lshlrev_b32_e32 v132, 1, v116
	v_lshlrev_b32_e32 v131, 1, v117
	v_lshlrev_b32_e32 v130, 1, v118
	s_and_saveexec_b32 s1, s0
	s_cbranch_execz .LBB0_23
; %bb.22:
	ds_load_b64 v[2:3], v128 offset:4480
	ds_load_b64 v[4:5], v128 offset:9184
.LBB0_23:
	s_wait_alu 0xfffe
	s_or_b32 exec_lo, exec_lo, s1
	v_and_b32_e32 v148, 1, v126
	v_lshlrev_b32_e32 v139, 1, v84
	s_delay_alu instid0(VALU_DEP_2)
	v_lshlrev_b32_e32 v6, 4, v148
	v_and_or_b32 v84, 0x3fc, v142, v148
	v_and_or_b32 v91, 0x2fc, v141, v148
	;; [unrolled: 1-line block ×4, first 2 shown]
	global_load_b128 v[46:49], v6, s[8:9]
	v_and_or_b32 v155, 0x3fc, v131, v148
	v_and_or_b32 v156, 0x7fc, v130, v148
	v_lshl_add_u32 v151, v84, 3, 0
	v_lshl_add_u32 v152, v91, 3, 0
	;; [unrolled: 1-line block ×6, first 2 shown]
	global_wb scope:SCOPE_SE
	s_wait_loadcnt_dscnt 0x0
	s_barrier_signal -1
	s_barrier_wait -1
	global_inv scope:SCOPE_SE
	v_mul_f64_e32 v[6:7], v[26:27], v[48:49]
	v_mul_f64_e32 v[50:51], v[36:37], v[48:49]
	v_mul_f64_e32 v[85:86], v[38:39], v[48:49]
	v_mul_f64_e32 v[118:119], v[4:5], v[48:49]
	v_mul_f64_e32 v[10:11], v[28:29], v[48:49]
	v_mul_f64_e32 v[14:15], v[30:31], v[48:49]
	v_mul_f64_e32 v[18:19], v[32:33], v[48:49]
	v_mul_f64_e32 v[22:23], v[34:35], v[48:49]
	v_mul_f64_e32 v[87:88], v[40:41], v[48:49]
	v_mul_f64_e32 v[89:90], v[42:43], v[48:49]
	v_mul_f64_e32 v[116:117], v[44:45], v[48:49]
	v_fma_f64 v[6:7], v[96:97], v[46:47], -v[6:7]
	v_fma_f64 v[50:51], v[102:103], v[46:47], -v[50:51]
	;; [unrolled: 1-line block ×11, first 2 shown]
	v_add_f64_e64 v[6:7], v[0:1], -v[6:7]
	v_add_f64_e64 v[157:158], v[24:25], -v[50:51]
	;; [unrolled: 1-line block ×11, first 2 shown]
	v_fma_f64 v[118:119], v[0:1], 2.0, -v[6:7]
	v_fma_f64 v[24:25], v[24:25], 2.0, -v[157:158]
	;; [unrolled: 1-line block ×11, first 2 shown]
	v_and_or_b32 v0, 0x7c, v146, v148
	v_and_or_b32 v1, 0xfc, v145, v148
	;; [unrolled: 1-line block ×4, first 2 shown]
	s_delay_alu instid0(VALU_DEP_4) | instskip(NEXT) | instid1(VALU_DEP_4)
	v_lshl_add_u32 v0, v0, 3, 0
	v_lshl_add_u32 v1, v1, 3, 0
	s_delay_alu instid0(VALU_DEP_4) | instskip(NEXT) | instid1(VALU_DEP_4)
	v_lshl_add_u32 v149, v80, 3, 0
	v_lshl_add_u32 v150, v81, 3, 0
	ds_store_2addr_b64 v0, v[118:119], v[6:7] offset1:2
	ds_store_2addr_b64 v1, v[8:9], v[10:11] offset1:2
	;; [unrolled: 1-line block ×10, first 2 shown]
	s_and_saveexec_b32 s1, s0
	s_cbranch_execz .LBB0_25
; %bb.24:
	v_and_or_b32 v6, 0x4fc, v139, v148
	s_delay_alu instid0(VALU_DEP_1)
	v_lshl_add_u32 v6, v6, 3, 0
	ds_store_2addr_b64 v6, v[52:53], v[50:51] offset1:2
.LBB0_25:
	s_wait_alu 0xfffe
	s_or_b32 exec_lo, exec_lo, s1
	v_add_nc_u32_e32 v6, 0x1000, v128
	v_add_nc_u32_e32 v14, 0x1800, v128
	;; [unrolled: 1-line block ×3, first 2 shown]
	global_wb scope:SCOPE_SE
	s_wait_dscnt 0x0
	s_barrier_signal -1
	s_barrier_wait -1
	global_inv scope:SCOPE_SE
	ds_load_2addr_b64 v[10:13], v6 offset0:76 offset1:132
	ds_load_2addr_b64 v[6:9], v6 offset0:188 offset1:244
	ds_load_b64 v[56:57], v128
	ds_load_b64 v[60:61], v127
	ds_load_b64 v[64:65], v124
	ds_load_b64 v[80:81], v125
	ds_load_2addr_b64 v[18:21], v14 offset0:44 offset1:100
	ds_load_2addr_b64 v[14:17], v14 offset0:156 offset1:212
	ds_load_b64 v[84:85], v137
	ds_load_b64 v[86:87], v136
	;; [unrolled: 1-line block ×4, first 2 shown]
	ds_load_2addr_b64 v[22:25], v22 offset0:12 offset1:68
	ds_load_b64 v[116:117], v147
	ds_load_b64 v[118:119], v123
	s_and_saveexec_b32 s1, s0
	s_cbranch_execz .LBB0_27
; %bb.26:
	ds_load_b64 v[52:53], v128 offset:4480
	ds_load_b64 v[50:51], v128 offset:9184
.LBB0_27:
	s_wait_alu 0xfffe
	s_or_b32 exec_lo, exec_lo, s1
	v_mul_f64_e32 v[96:97], v[96:97], v[48:49]
	v_mul_f64_e32 v[98:99], v[98:99], v[48:49]
	;; [unrolled: 1-line block ×11, first 2 shown]
	global_wb scope:SCOPE_SE
	s_wait_dscnt 0x0
	s_barrier_signal -1
	s_barrier_wait -1
	global_inv scope:SCOPE_SE
	v_fma_f64 v[26:27], v[26:27], v[46:47], v[96:97]
	v_fma_f64 v[28:29], v[28:29], v[46:47], v[98:99]
	;; [unrolled: 1-line block ×11, first 2 shown]
	v_add_f64_e64 v[26:27], v[54:55], -v[26:27]
	v_add_f64_e64 v[28:29], v[58:59], -v[28:29]
	;; [unrolled: 1-line block ×11, first 2 shown]
	v_fma_f64 v[48:49], v[54:55], 2.0, -v[26:27]
	v_fma_f64 v[54:55], v[58:59], 2.0, -v[28:29]
	;; [unrolled: 1-line block ×11, first 2 shown]
	ds_store_2addr_b64 v0, v[48:49], v[26:27] offset1:2
	ds_store_2addr_b64 v1, v[54:55], v[28:29] offset1:2
	;; [unrolled: 1-line block ×10, first 2 shown]
	s_and_saveexec_b32 s1, s0
	s_cbranch_execz .LBB0_29
; %bb.28:
	v_and_or_b32 v0, 0x4fc, v139, v148
	s_delay_alu instid0(VALU_DEP_1)
	v_lshl_add_u32 v0, v0, 3, 0
	ds_store_2addr_b64 v0, v[46:47], v[4:5] offset1:2
.LBB0_29:
	s_wait_alu 0xfffe
	s_or_b32 exec_lo, exec_lo, s1
	v_add_nc_u32_e32 v26, 0x1000, v128
	global_wb scope:SCOPE_SE
	s_wait_dscnt 0x0
	s_barrier_signal -1
	s_barrier_wait -1
	global_inv scope:SCOPE_SE
	ds_load_2addr_b64 v[0:3], v26 offset0:76 offset1:132
	ds_load_2addr_b64 v[30:33], v26 offset0:188 offset1:244
	v_add_nc_u32_e32 v26, 0x1800, v128
	ds_load_b64 v[48:49], v128
	ds_load_b64 v[54:55], v127
	;; [unrolled: 1-line block ×4, first 2 shown]
	ds_load_2addr_b64 v[34:37], v26 offset0:44 offset1:100
	ds_load_2addr_b64 v[38:41], v26 offset0:156 offset1:212
	v_add_nc_u32_e32 v26, 0x2000, v128
	ds_load_b64 v[66:67], v137
	ds_load_b64 v[68:69], v136
	ds_load_b64 v[70:71], v122
	ds_load_b64 v[72:73], v138
	ds_load_2addr_b64 v[42:45], v26 offset0:12 offset1:68
	ds_load_b64 v[74:75], v147
	ds_load_b64 v[76:77], v123
	s_and_saveexec_b32 s1, s0
	s_cbranch_execz .LBB0_31
; %bb.30:
	ds_load_b64 v[46:47], v128 offset:4480
	ds_load_b64 v[4:5], v128 offset:9184
.LBB0_31:
	s_wait_alu 0xfffe
	s_or_b32 exec_lo, exec_lo, s1
	v_and_b32_e32 v78, 3, v126
	s_delay_alu instid0(VALU_DEP_1)
	v_lshlrev_b32_e32 v26, 4, v78
	v_and_or_b32 v79, 0x1f8, v144, v78
	global_load_b128 v[26:29], v26, s[8:9] offset:32
	v_lshl_add_u32 v79, v79, 3, 0
	global_wb scope:SCOPE_SE
	s_wait_loadcnt_dscnt 0x0
	s_barrier_signal -1
	s_barrier_wait -1
	global_inv scope:SCOPE_SE
	v_mul_f64_e32 v[82:83], v[0:1], v[28:29]
	v_mul_f64_e32 v[92:93], v[2:3], v[28:29]
	v_mul_f64_e32 v[94:95], v[30:31], v[28:29]
	v_mul_f64_e32 v[96:97], v[32:33], v[28:29]
	v_mul_f64_e32 v[98:99], v[34:35], v[28:29]
	v_mul_f64_e32 v[100:101], v[36:37], v[28:29]
	v_mul_f64_e32 v[102:103], v[38:39], v[28:29]
	v_mul_f64_e32 v[104:105], v[40:41], v[28:29]
	v_mul_f64_e32 v[106:107], v[42:43], v[28:29]
	v_mul_f64_e32 v[108:109], v[44:45], v[28:29]
	v_fma_f64 v[82:83], v[10:11], v[26:27], -v[82:83]
	v_fma_f64 v[92:93], v[12:13], v[26:27], -v[92:93]
	;; [unrolled: 1-line block ×10, first 2 shown]
	v_add_f64_e64 v[110:111], v[56:57], -v[82:83]
	v_add_f64_e64 v[92:93], v[60:61], -v[92:93]
	;; [unrolled: 1-line block ×10, first 2 shown]
	v_and_or_b32 v82, 0x2f8, v141, v78
	v_and_or_b32 v83, 0x3f8, v140, v78
	s_delay_alu instid0(VALU_DEP_2) | instskip(NEXT) | instid1(VALU_DEP_2)
	v_lshl_add_u32 v82, v82, 3, 0
	v_lshl_add_u32 v83, v83, 3, 0
	v_fma_f64 v[56:57], v[56:57], 2.0, -v[110:111]
	v_fma_f64 v[147:148], v[60:61], 2.0, -v[92:93]
	v_fma_f64 v[64:65], v[64:65], 2.0, -v[94:95]
	v_fma_f64 v[149:150], v[80:81], 2.0, -v[96:97]
	v_fma_f64 v[151:152], v[84:85], 2.0, -v[98:99]
	v_fma_f64 v[153:154], v[86:87], 2.0, -v[100:101]
	v_fma_f64 v[87:88], v[88:89], 2.0, -v[102:103]
	v_fma_f64 v[89:90], v[90:91], 2.0, -v[104:105]
	v_fma_f64 v[116:117], v[116:117], 2.0, -v[106:107]
	v_fma_f64 v[118:119], v[118:119], 2.0, -v[108:109]
	v_and_or_b32 v60, 0x78, v146, v78
	v_and_or_b32 v61, 0xf8, v145, v78
	v_and_or_b32 v80, 0x1f8, v143, v78
	v_and_or_b32 v81, 0x3f8, v142, v78
	v_and_or_b32 v84, 0x3f8, v132, v78
	v_and_or_b32 v85, 0x3f8, v131, v78
	v_and_or_b32 v86, 0x7f8, v130, v78
	v_lshl_add_u32 v60, v60, 3, 0
	v_lshl_add_u32 v61, v61, 3, 0
	;; [unrolled: 1-line block ×7, first 2 shown]
	ds_store_2addr_b64 v60, v[56:57], v[110:111] offset1:4
	ds_store_2addr_b64 v61, v[147:148], v[92:93] offset1:4
	;; [unrolled: 1-line block ×10, first 2 shown]
	s_and_saveexec_b32 s1, s0
	s_cbranch_execz .LBB0_33
; %bb.32:
	v_mul_f64_e32 v[56:57], v[4:5], v[28:29]
	v_and_or_b32 v64, 0x4f8, v139, v78
	s_delay_alu instid0(VALU_DEP_1) | instskip(NEXT) | instid1(VALU_DEP_3)
	v_lshl_add_u32 v64, v64, 3, 0
	v_fma_f64 v[56:57], v[50:51], v[26:27], -v[56:57]
	s_delay_alu instid0(VALU_DEP_1) | instskip(NEXT) | instid1(VALU_DEP_1)
	v_add_f64_e64 v[56:57], v[52:53], -v[56:57]
	v_fma_f64 v[52:53], v[52:53], 2.0, -v[56:57]
	ds_store_2addr_b64 v64, v[52:53], v[56:57] offset1:4
.LBB0_33:
	s_wait_alu 0xfffe
	s_or_b32 exec_lo, exec_lo, s1
	v_mul_f64_e32 v[10:11], v[10:11], v[28:29]
	v_mul_f64_e32 v[12:13], v[12:13], v[28:29]
	;; [unrolled: 1-line block ×10, first 2 shown]
	v_add_nc_u32_e32 v118, 0x1400, v128
	v_add_nc_u32_e32 v130, 0x1800, v128
	v_add_nc_u32_e32 v119, 0xc00, v128
	global_wb scope:SCOPE_SE
	s_wait_dscnt 0x0
	s_barrier_signal -1
	s_barrier_wait -1
	global_inv scope:SCOPE_SE
	v_add_nc_u32_e32 v132, 0x1000, v128
	v_add_nc_u32_e32 v131, 0x2000, v128
	v_fma_f64 v[0:1], v[0:1], v[26:27], v[10:11]
	v_fma_f64 v[2:3], v[2:3], v[26:27], v[12:13]
	;; [unrolled: 1-line block ×10, first 2 shown]
	v_add_f64_e64 v[24:25], v[48:49], -v[0:1]
	v_add_f64_e64 v[30:31], v[54:55], -v[2:3]
	;; [unrolled: 1-line block ×10, first 2 shown]
	ds_load_2addr_stride64_b64 v[0:3], v128 offset1:7
	v_fma_f64 v[48:49], v[48:49], 2.0, -v[24:25]
	v_fma_f64 v[87:88], v[54:55], 2.0, -v[30:31]
	;; [unrolled: 1-line block ×10, first 2 shown]
	ds_load_b64 v[70:71], v127
	ds_load_b64 v[64:65], v124
	;; [unrolled: 1-line block ×7, first 2 shown]
	ds_load_2addr_b64 v[8:11], v118 offset0:88 offset1:144
	ds_load_2addr_b64 v[56:59], v130 offset0:72 offset1:128
	;; [unrolled: 1-line block ×6, first 2 shown]
	global_wb scope:SCOPE_SE
	s_wait_dscnt 0x0
	s_barrier_signal -1
	s_barrier_wait -1
	global_inv scope:SCOPE_SE
	ds_store_2addr_b64 v60, v[48:49], v[24:25] offset1:4
	ds_store_2addr_b64 v61, v[87:88], v[30:31] offset1:4
	;; [unrolled: 1-line block ×10, first 2 shown]
	s_and_saveexec_b32 s1, s0
	s_cbranch_execz .LBB0_35
; %bb.34:
	v_mul_f64_e32 v[6:7], v[50:51], v[28:29]
	v_and_or_b32 v24, 0x4f8, v139, v78
	s_delay_alu instid0(VALU_DEP_1) | instskip(NEXT) | instid1(VALU_DEP_3)
	v_lshl_add_u32 v24, v24, 3, 0
	v_fma_f64 v[4:5], v[4:5], v[26:27], v[6:7]
	s_delay_alu instid0(VALU_DEP_1) | instskip(NEXT) | instid1(VALU_DEP_1)
	v_add_f64_e64 v[4:5], v[46:47], -v[4:5]
	v_fma_f64 v[6:7], v[46:47], 2.0, -v[4:5]
	ds_store_2addr_b64 v24, v[6:7], v[4:5] offset1:4
.LBB0_35:
	s_wait_alu 0xfffe
	s_or_b32 exec_lo, exec_lo, s1
	v_and_b32_e32 v92, 7, v126
	global_wb scope:SCOPE_SE
	s_wait_dscnt 0x0
	s_barrier_signal -1
	s_barrier_wait -1
	global_inv scope:SCOPE_SE
	v_lshlrev_b32_e32 v4, 5, v92
	v_lshrrev_b32_e32 v107, 3, v126
	v_lshrrev_b32_e32 v108, 3, v120
	;; [unrolled: 1-line block ×4, first 2 shown]
	s_clause 0x1
	global_load_b128 v[24:27], v4, s[8:9] offset:112
	global_load_b128 v[28:31], v4, s[8:9] offset:96
	ds_load_2addr_b64 v[32:35], v130 offset0:72 offset1:128
	ds_load_2addr_b64 v[36:39], v119 offset0:120 offset1:176
	;; [unrolled: 1-line block ×4, first 2 shown]
	ds_load_2addr_stride64_b64 v[4:7], v128 offset1:7
	ds_load_b64 v[84:85], v138
	ds_load_2addr_b64 v[48:51], v118 offset0:88 offset1:144
	ds_load_b64 v[82:83], v127
	ds_load_b64 v[80:81], v124
	;; [unrolled: 1-line block ×5, first 2 shown]
	ds_load_2addr_b64 v[60:63], v131 offset0:40 offset1:96
	ds_load_b64 v[88:89], v122
	v_lshrrev_b32_e32 v143, 3, v134
	v_mul_u32_u24_e32 v163, 24, v107
	v_mul_lo_u32 v164, v108, 24
	v_mul_lo_u32 v165, v141, 24
	;; [unrolled: 1-line block ×4, first 2 shown]
	v_lshrrev_b32_e32 v159, 3, v135
	v_and_b32_e32 v160, 0xff, v126
	v_lshrrev_b32_e32 v111, 3, v121
	v_and_b32_e32 v161, 0xff, v120
	s_mov_b32 s0, 0xe8584caa
	s_mov_b32 s1, 0x3febb67a
	;; [unrolled: 1-line block ×3, first 2 shown]
	v_mul_lo_u32 v111, v111, 24
	s_wait_alu 0xfffe
	s_mov_b32 s4, s0
	v_add_nc_u32_e32 v129, 0x800, v128
	global_wb scope:SCOPE_SE
	s_wait_loadcnt_dscnt 0x0
	s_barrier_signal -1
	s_barrier_wait -1
	global_inv scope:SCOPE_SE
	v_and_b32_e32 v162, 0xff, v121
	s_mov_b32 s14, 0x37e14327
	s_mov_b32 s24, 0x36b3c0b5
	;; [unrolled: 1-line block ×13, first 2 shown]
	s_wait_alu 0xfffe
	s_mov_b32 s18, s10
	s_mov_b32 s21, 0xbfd5d0dc
	;; [unrolled: 1-line block ×3, first 2 shown]
	v_mul_f64_e32 v[93:94], v[32:33], v[26:27]
	v_mul_f64_e32 v[95:96], v[34:35], v[26:27]
	v_mul_f64_e32 v[97:98], v[36:37], v[30:31]
	v_mul_f64_e32 v[99:100], v[38:39], v[30:31]
	v_mul_f64_e32 v[101:102], v[84:85], v[30:31]
	v_mul_f64_e32 v[103:104], v[50:51], v[26:27]
	v_mul_f64_e32 v[105:106], v[6:7], v[30:31]
	v_mul_f64_e32 v[107:108], v[40:41], v[26:27]
	v_mul_f64_e32 v[141:142], v[90:91], v[30:31]
	v_mul_f64_e32 v[143:144], v[10:11], v[26:27]
	v_mul_f64_e32 v[145:146], v[2:3], v[30:31]
	v_mul_f64_e32 v[147:148], v[56:57], v[26:27]
	v_mul_f64_e32 v[149:150], v[52:53], v[30:31]
	v_mul_f64_e32 v[151:152], v[58:59], v[26:27]
	v_mul_f64_e32 v[153:154], v[54:55], v[30:31]
	v_mul_f64_e32 v[155:156], v[20:21], v[26:27]
	v_mul_f64_e32 v[109:110], v[42:43], v[26:27]
	v_mul_f64_e32 v[116:117], v[44:45], v[30:31]
	v_mul_f64_e32 v[157:158], v[16:17], v[30:31]
	v_mul_f64_e32 v[133:134], v[46:47], v[30:31]
	v_mul_f64_e32 v[135:136], v[60:61], v[26:27]
	v_mul_f64_e32 v[137:138], v[48:49], v[30:31]
	v_mul_f64_e32 v[139:140], v[62:63], v[26:27]
	v_fma_f64 v[56:57], v[56:57], v[24:25], -v[93:94]
	v_mul_f64_e32 v[93:94], v[22:23], v[26:27]
	v_fma_f64 v[58:59], v[58:59], v[24:25], -v[95:96]
	v_mul_f64_e32 v[95:96], v[18:19], v[30:31]
	v_fma_f64 v[52:53], v[52:53], v[28:29], -v[97:98]
	v_mul_f64_e32 v[97:98], v[12:13], v[26:27]
	v_mul_f64_e32 v[30:31], v[8:9], v[30:31]
	v_mul_f64_e32 v[26:27], v[14:15], v[26:27]
	v_fma_f64 v[54:55], v[54:55], v[28:29], -v[99:100]
	v_fma_f64 v[90:91], v[90:91], v[28:29], -v[101:102]
	;; [unrolled: 1-line block ×5, first 2 shown]
	v_fma_f64 v[84:85], v[84:85], v[28:29], v[141:142]
	v_fma_f64 v[50:51], v[50:51], v[24:25], v[143:144]
	;; [unrolled: 1-line block ×8, first 2 shown]
	v_fma_f64 v[22:23], v[22:23], v[24:25], -v[109:110]
	v_fma_f64 v[16:17], v[16:17], v[28:29], -v[116:117]
	v_fma_f64 v[44:45], v[44:45], v[28:29], v[157:158]
	v_fma_f64 v[18:19], v[18:19], v[28:29], -v[133:134]
	v_fma_f64 v[12:13], v[12:13], v[24:25], -v[135:136]
	;; [unrolled: 1-line block ×4, first 2 shown]
	v_mul_lo_u16 v100, 0xab, v160
	v_mul_lo_u16 v101, 0xab, v161
	v_or_b32_e32 v102, v163, v92
	v_or_b32_e32 v103, v165, v92
	v_mul_lo_u32 v99, v159, 24
	v_lshrrev_b16 v136, 12, v100
	v_or_b32_e32 v100, v164, v92
	v_lshrrev_b16 v135, 12, v101
	v_or_b32_e32 v101, v111, v92
	v_lshl_add_u32 v154, v102, 3, 0
	v_lshl_add_u32 v157, v103, 3, 0
	v_fma_f64 v[42:43], v[42:43], v[24:25], v[93:94]
	v_mul_lo_u16 v94, v136, 24
	v_fma_f64 v[46:47], v[46:47], v[28:29], v[95:96]
	v_lshl_add_u32 v155, v100, 3, 0
	v_fma_f64 v[60:61], v[60:61], v[24:25], v[97:98]
	v_fma_f64 v[28:29], v[48:49], v[28:29], v[30:31]
	;; [unrolled: 1-line block ×3, first 2 shown]
	v_sub_nc_u16 v100, v126, v94
	v_add_f64_e32 v[48:49], v[52:53], v[58:59]
	v_add_f64_e32 v[26:27], v[90:91], v[10:11]
	;; [unrolled: 1-line block ×4, first 2 shown]
	v_lshl_add_u32 v156, v101, 3, 0
	v_and_b32_e32 v133, 0xff, v100
	v_add_f64_e64 v[100:101], v[84:85], -v[50:51]
	v_add_f64_e32 v[102:103], v[4:5], v[84:85]
	v_add_f64_e32 v[84:85], v[84:85], v[50:51]
	;; [unrolled: 1-line block ×5, first 2 shown]
	v_or_b32_e32 v104, v166, v92
	v_or_b32_e32 v98, v167, v92
	;; [unrolled: 1-line block ×3, first 2 shown]
	v_add_f64_e32 v[92:93], v[16:17], v[22:23]
	v_add_f64_e32 v[94:95], v[18:19], v[12:13]
	v_mul_lo_u16 v99, v135, 24
	v_add_f64_e32 v[96:97], v[8:9], v[14:15]
	v_lshl_add_u32 v160, v98, 3, 0
	v_add_f64_e32 v[110:111], v[64:65], v[52:53]
	v_add_f64_e32 v[137:138], v[66:67], v[54:55]
	v_sub_nc_u16 v99, v120, v99
	v_lshl_add_u32 v158, v104, 3, 0
	v_add_f64_e32 v[104:105], v[70:71], v[2:3]
	v_add_f64_e64 v[151:152], v[6:7], -v[32:33]
	v_add_f64_e32 v[6:7], v[82:83], v[6:7]
	v_and_b32_e32 v134, 0xff, v99
	v_add_f64_e32 v[98:99], v[0:1], v[90:91]
	v_add_f64_e64 v[90:91], v[90:91], -v[10:11]
	v_add_f64_e32 v[139:140], v[44:45], v[42:43]
	v_add_f64_e64 v[2:3], v[2:3], -v[56:57]
	v_add_f64_e64 v[52:53], v[52:53], -v[58:59]
	;; [unrolled: 1-line block ×3, first 2 shown]
	v_add_f64_e32 v[143:144], v[46:47], v[60:61]
	v_add_f64_e32 v[141:142], v[68:69], v[16:17]
	;; [unrolled: 1-line block ×3, first 2 shown]
	v_add_f64_e64 v[16:17], v[16:17], -v[22:23]
	v_fma_f64 v[48:49], v[48:49], -0.5, v[64:65]
	v_fma_f64 v[0:1], v[26:27], -0.5, v[0:1]
	;; [unrolled: 1-line block ×3, first 2 shown]
	v_add_f64_e64 v[30:31], v[36:37], -v[34:35]
	v_add_f64_e64 v[64:65], v[38:39], -v[40:41]
	v_fma_f64 v[62:63], v[62:63], -0.5, v[66:67]
	v_add_f64_e64 v[66:67], v[44:45], -v[42:43]
	v_add_f64_e32 v[36:37], v[80:81], v[36:37]
	v_add_f64_e32 v[38:39], v[78:79], v[38:39]
	;; [unrolled: 1-line block ×3, first 2 shown]
	v_fma_f64 v[4:5], v[84:85], -0.5, v[4:5]
	v_add_f64_e64 v[70:71], v[46:47], -v[60:61]
	v_add_f64_e32 v[46:47], v[86:87], v[46:47]
	v_fma_f64 v[82:83], v[106:107], -0.5, v[82:83]
	v_fma_f64 v[80:81], v[108:109], -0.5, v[80:81]
	;; [unrolled: 1-line block ×4, first 2 shown]
	v_add_f64_e32 v[145:146], v[72:73], v[18:19]
	v_fma_f64 v[72:73], v[94:95], -0.5, v[72:73]
	v_add_f64_e64 v[18:19], v[18:19], -v[12:13]
	v_add_f64_e32 v[149:150], v[74:75], v[8:9]
	v_add_f64_e64 v[92:93], v[28:29], -v[24:25]
	v_fma_f64 v[74:75], v[96:97], -0.5, v[74:75]
	v_add_f64_e32 v[28:29], v[88:89], v[28:29]
	v_add_f64_e64 v[8:9], v[8:9], -v[14:15]
	v_add_f64_e32 v[50:51], v[102:103], v[50:51]
	v_add_f64_e32 v[56:57], v[104:105], v[56:57]
	;; [unrolled: 1-line block ×5, first 2 shown]
	v_fma_f64 v[76:77], v[139:140], -0.5, v[76:77]
	v_add_f64_e32 v[20:21], v[137:138], v[20:21]
	v_mul_u32_u24_e32 v161, 6, v133
	v_mul_u32_u24_e32 v99, 6, v134
	v_fma_f64 v[84:85], v[143:144], -0.5, v[86:87]
	v_add_f64_e32 v[22:23], v[141:142], v[22:23]
	v_fma_f64 v[86:87], v[147:148], -0.5, v[88:89]
	v_lshl_add_u32 v98, v153, 3, 0
	v_lshlrev_b32_e32 v110, 4, v161
	v_fma_f64 v[88:89], v[100:101], s[0:1], v[0:1]
	v_fma_f64 v[0:1], v[100:101], s[4:5], v[0:1]
	;; [unrolled: 1-line block ×6, first 2 shown]
	v_add_f64_e32 v[34:35], v[36:37], v[34:35]
	v_add_f64_e32 v[36:37], v[38:39], v[40:41]
	;; [unrolled: 1-line block ×3, first 2 shown]
	v_fma_f64 v[42:43], v[90:91], s[4:5], v[4:5]
	v_fma_f64 v[44:45], v[90:91], s[0:1], v[4:5]
	v_add_f64_e32 v[40:41], v[46:47], v[60:61]
	v_fma_f64 v[46:47], v[2:3], s[4:5], v[82:83]
	v_fma_f64 v[60:61], v[2:3], s[0:1], v[82:83]
	;; [unrolled: 1-line block ×10, first 2 shown]
	v_add_f64_e32 v[12:13], v[145:146], v[12:13]
	v_fma_f64 v[68:69], v[70:71], s[0:1], v[72:73]
	v_fma_f64 v[70:71], v[70:71], s[4:5], v[72:73]
	v_add_f64_e32 v[14:15], v[149:150], v[14:15]
	v_fma_f64 v[72:73], v[92:93], s[0:1], v[74:75]
	v_fma_f64 v[74:75], v[92:93], s[4:5], v[74:75]
	;; [unrolled: 3-line block ×3, first 2 shown]
	ds_store_2addr_b64 v154, v[10:11], v[88:89] offset1:8
	ds_store_b64 v154, v[0:1] offset:128
	ds_store_2addr_b64 v155, v[56:57], v[94:95] offset1:8
	ds_store_b64 v155, v[26:27] offset:128
	;; [unrolled: 2-line block ×7, first 2 shown]
	v_fma_f64 v[90:91], v[18:19], s[4:5], v[84:85]
	v_fma_f64 v[84:85], v[18:19], s[0:1], v[84:85]
	;; [unrolled: 1-line block ×4, first 2 shown]
	global_wb scope:SCOPE_SE
	s_wait_dscnt 0x0
	s_barrier_signal -1
	s_barrier_wait -1
	global_inv scope:SCOPE_SE
	ds_load_2addr_b64 v[0:3], v128 offset1:224
	ds_load_b64 v[104:105], v123
	ds_load_2addr_b64 v[4:7], v132 offset0:104 offset1:160
	ds_load_2addr_b64 v[139:142], v130 offset0:72 offset1:128
	;; [unrolled: 1-line block ×3, first 2 shown]
	ds_load_b64 v[100:101], v127
	ds_load_2addr_b64 v[24:27], v129 offset0:24 offset1:136
	ds_load_2addr_b64 v[12:15], v119 offset0:64 offset1:176
	;; [unrolled: 1-line block ×4, first 2 shown]
	ds_load_b64 v[106:107], v122
	ds_load_b64 v[108:109], v125
	ds_load_b64 v[102:103], v124
	global_wb scope:SCOPE_SE
	s_wait_dscnt 0x0
	s_barrier_signal -1
	s_barrier_wait -1
	global_inv scope:SCOPE_SE
	ds_store_2addr_b64 v154, v[50:51], v[42:43] offset1:8
	ds_store_b64 v154, v[44:45] offset:128
	ds_store_2addr_b64 v155, v[32:33], v[46:47] offset1:8
	ds_store_b64 v155, v[60:61] offset:128
	;; [unrolled: 2-line block ×7, first 2 shown]
	v_lshlrev_b32_e32 v32, 4, v99
	global_wb scope:SCOPE_SE
	s_wait_dscnt 0x0
	s_barrier_signal -1
	s_barrier_wait -1
	global_inv scope:SCOPE_SE
	s_clause 0x1
	global_load_b128 v[143:146], v110, s[8:9] offset:416
	global_load_b128 v[147:150], v32, s[8:9] offset:416
	v_mul_lo_u16 v159, 0xab, v162
	s_mov_b32 s4, 0xaaaaaaaa
	s_mov_b32 s5, 0xbff2aaaa
	;; [unrolled: 1-line block ×4, first 2 shown]
	v_lshrrev_b16 v138, 12, v159
	s_delay_alu instid0(VALU_DEP_1) | instskip(NEXT) | instid1(VALU_DEP_1)
	v_mul_lo_u16 v28, v138, 24
	v_sub_nc_u16 v28, v121, v28
	s_delay_alu instid0(VALU_DEP_1) | instskip(SKIP_2) | instid1(VALU_DEP_1)
	v_and_b32_e32 v137, 0xff, v28
	global_load_b128 v[28:31], v32, s[8:9] offset:368
	v_mul_u32_u24_e32 v33, 6, v137
	v_lshlrev_b32_e32 v33, 4, v33
	s_clause 0xe
	global_load_b128 v[36:39], v33, s[8:9] offset:352
	global_load_b128 v[44:47], v32, s[8:9] offset:432
	;; [unrolled: 1-line block ×15, first 2 shown]
	ds_load_2addr_b64 v[151:154], v130 offset0:72 offset1:128
	ds_load_2addr_b64 v[92:95], v129 offset0:24 offset1:136
	;; [unrolled: 1-line block ×3, first 2 shown]
	s_wait_loadcnt_dscnt 0x1102
	v_mul_f64_e32 v[110:111], v[151:152], v[145:146]
	v_mul_f64_e32 v[116:117], v[139:140], v[145:146]
	s_wait_loadcnt 0x10
	v_mul_f64_e32 v[145:146], v[153:154], v[149:150]
	v_mul_f64_e32 v[149:150], v[141:142], v[149:150]
	s_wait_loadcnt_dscnt 0xf01
	v_mul_f64_e32 v[155:156], v[94:95], v[30:31]
	v_mul_f64_e32 v[157:158], v[26:27], v[30:31]
	s_wait_loadcnt 0xe
	v_mul_f64_e32 v[159:160], v[92:93], v[38:39]
	v_mul_f64_e32 v[161:162], v[24:25], v[38:39]
	v_fma_f64 v[38:39], v[139:140], v[143:144], -v[110:111]
	v_fma_f64 v[110:111], v[151:152], v[143:144], v[116:117]
	ds_load_b64 v[116:117], v125
	s_wait_loadcnt_dscnt 0xd01
	v_mul_f64_e32 v[139:140], v[96:97], v[46:47]
	v_fma_f64 v[30:31], v[141:142], v[147:148], -v[145:146]
	v_mul_f64_e32 v[141:142], v[20:21], v[46:47]
	s_wait_loadcnt 0xc
	v_mul_f64_e32 v[143:144], v[98:99], v[90:91]
	ds_load_b64 v[145:146], v122
	v_fma_f64 v[46:47], v[153:154], v[147:148], v[149:150]
	v_mul_f64_e32 v[147:148], v[22:23], v[90:91]
	ds_load_b64 v[149:150], v124
	s_wait_loadcnt_dscnt 0xb02
	v_mul_f64_e32 v[151:152], v[116:117], v[86:87]
	v_mul_f64_e32 v[86:87], v[108:109], v[86:87]
	v_fma_f64 v[153:154], v[26:27], v[28:29], -v[155:156]
	ds_load_b64 v[155:156], v123
	v_fma_f64 v[28:29], v[94:95], v[28:29], v[157:158]
	v_fma_f64 v[157:158], v[24:25], v[36:37], -v[159:160]
	v_fma_f64 v[36:37], v[92:93], v[36:37], v[161:162]
	ds_load_2addr_b64 v[24:27], v132 offset0:104 offset1:160
	ds_load_2addr_b64 v[90:93], v130 offset0:184 offset1:240
	s_wait_loadcnt_dscnt 0xa04
	v_mul_f64_e32 v[159:160], v[145:146], v[82:83]
	v_mul_f64_e32 v[82:83], v[106:107], v[82:83]
	v_fma_f64 v[139:140], v[20:21], v[44:45], -v[139:140]
	v_fma_f64 v[44:45], v[96:97], v[44:45], v[141:142]
	ds_load_2addr_b64 v[94:97], v128 offset1:224
	v_fma_f64 v[141:142], v[22:23], v[88:89], -v[143:144]
	ds_load_2addr_b64 v[20:23], v119 offset0:64 offset1:176
	v_fma_f64 v[88:89], v[98:99], v[88:89], v[147:148]
	s_wait_loadcnt_dscnt 0x904
	v_mul_f64_e32 v[98:99], v[155:156], v[78:79]
	s_wait_loadcnt_dscnt 0x702
	v_mul_f64_e32 v[161:162], v[92:93], v[70:71]
	v_mul_f64_e32 v[147:148], v[26:27], v[74:75]
	;; [unrolled: 1-line block ×5, first 2 shown]
	v_fma_f64 v[108:109], v[108:109], v[84:85], -v[151:152]
	v_fma_f64 v[84:85], v[116:117], v[84:85], v[86:87]
	s_wait_loadcnt 0x5
	v_mul_f64_e32 v[116:117], v[90:91], v[58:59]
	v_mul_f64_e32 v[58:59], v[16:17], v[58:59]
	s_wait_dscnt 0x1
	v_mul_f64_e32 v[86:87], v[96:97], v[62:63]
	v_mul_f64_e32 v[62:63], v[2:3], v[62:63]
	s_wait_loadcnt_dscnt 0x400
	v_mul_f64_e32 v[151:152], v[20:21], v[66:67]
	v_mul_f64_e32 v[66:67], v[12:13], v[66:67]
	v_fma_f64 v[106:107], v[106:107], v[80:81], -v[159:160]
	v_fma_f64 v[82:83], v[145:146], v[80:81], v[82:83]
	ds_load_2addr_b64 v[78:81], v118 offset0:88 offset1:144
	v_and_b32_e32 v159, 0xffff, v138
	v_fma_f64 v[98:99], v[104:105], v[76:77], -v[98:99]
	v_fma_f64 v[18:19], v[18:19], v[68:69], -v[161:162]
	s_wait_loadcnt 0x3
	v_mul_f64_e32 v[104:105], v[22:23], v[54:55]
	v_mul_f64_e32 v[54:55], v[14:15], v[54:55]
	v_fma_f64 v[6:7], v[6:7], v[72:73], -v[147:148]
	v_fma_f64 v[26:27], v[26:27], v[72:73], v[74:75]
	s_wait_loadcnt_dscnt 0x200
	v_mul_f64_e32 v[72:73], v[78:79], v[50:51]
	v_mul_f64_e32 v[50:51], v[8:9], v[50:51]
	v_fma_f64 v[68:69], v[92:93], v[68:69], v[70:71]
	s_wait_loadcnt 0x1
	v_mul_f64_e32 v[70:71], v[24:25], v[42:43]
	v_mul_f64_e32 v[42:43], v[4:5], v[42:43]
	s_wait_loadcnt 0x0
	v_mul_f64_e32 v[74:75], v[80:81], v[34:35]
	v_mul_f64_e32 v[34:35], v[10:11], v[34:35]
	v_fma_f64 v[76:77], v[155:156], v[76:77], v[143:144]
	v_fma_f64 v[16:17], v[16:17], v[56:57], -v[116:117]
	v_fma_f64 v[56:57], v[90:91], v[56:57], v[58:59]
	v_fma_f64 v[2:3], v[2:3], v[60:61], -v[86:87]
	;; [unrolled: 2-line block ×3, first 2 shown]
	v_fma_f64 v[20:21], v[20:21], v[64:65], v[66:67]
	v_add_f64_e32 v[62:63], v[106:107], v[38:39]
	v_add_f64_e64 v[38:39], v[106:107], -v[38:39]
	v_add_f64_e64 v[86:87], v[157:158], -v[141:142]
	v_and_b32_e32 v148, 0xffff, v135
	v_add_f64_e32 v[58:59], v[108:109], v[18:19]
	v_fma_f64 v[14:15], v[14:15], v[52:53], -v[104:105]
	v_fma_f64 v[22:23], v[22:23], v[52:53], v[54:55]
	v_add_f64_e32 v[52:53], v[153:154], v[30:31]
	v_add_f64_e32 v[54:55], v[82:83], v[110:111]
	v_fma_f64 v[8:9], v[8:9], v[48:49], -v[72:73]
	v_fma_f64 v[48:49], v[78:79], v[48:49], v[50:51]
	v_add_f64_e32 v[64:65], v[98:99], v[6:7]
	v_fma_f64 v[4:5], v[4:5], v[40:41], -v[70:71]
	v_fma_f64 v[24:25], v[24:25], v[40:41], v[42:43]
	v_fma_f64 v[10:11], v[10:11], v[32:33], -v[74:75]
	v_fma_f64 v[32:33], v[80:81], v[32:33], v[34:35]
	v_add_f64_e32 v[34:35], v[157:158], v[141:142]
	v_add_f64_e32 v[42:43], v[84:85], v[68:69]
	v_and_b32_e32 v80, 0xffff, v136
	v_add_f64_e32 v[50:51], v[2:3], v[139:140]
	v_add_f64_e32 v[72:73], v[60:61], v[44:45]
	;; [unrolled: 1-line block ×5, first 2 shown]
	v_add_f64_e64 v[70:71], v[82:83], -v[110:111]
	v_add_f64_e64 v[26:27], v[26:27], -v[76:77]
	v_add_f64_e32 v[76:77], v[36:37], v[88:89]
	v_add_f64_e32 v[78:79], v[20:21], v[56:57]
	v_mul_u32_u24_e32 v160, 0x540, v80
	v_add_f64_e64 v[68:69], v[84:85], -v[68:69]
	v_add_f64_e64 v[6:7], v[6:7], -v[98:99]
	;; [unrolled: 1-line block ×10, first 2 shown]
	v_add_f64_e32 v[80:81], v[62:63], v[58:59]
	v_add_f64_e32 v[82:83], v[14:15], v[8:9]
	v_add_f64_e64 v[46:47], v[48:49], -v[22:23]
	v_add_f64_e32 v[22:23], v[22:23], v[48:49]
	v_add_f64_e64 v[8:9], v[8:9], -v[14:15]
	ds_load_b64 v[14:15], v127
	v_add_f64_e32 v[56:57], v[4:5], v[10:11]
	v_add_f64_e64 v[60:61], v[32:33], -v[24:25]
	v_add_f64_e64 v[4:5], v[10:11], -v[4:5]
	v_add_f64_e32 v[10:11], v[54:55], v[42:43]
	v_add_f64_e32 v[16:17], v[24:25], v[32:33]
	;; [unrolled: 1-line block ×3, first 2 shown]
	v_add_f64_e64 v[24:25], v[62:63], -v[58:59]
	v_add_f64_e32 v[84:85], v[40:41], v[34:35]
	v_add_f64_e32 v[98:99], v[74:75], v[72:73]
	v_add_f64_e64 v[58:59], v[58:59], -v[64:65]
	v_add_f64_e64 v[62:63], v[64:65], -v[62:63]
	;; [unrolled: 1-line block ×3, first 2 shown]
	v_add_f64_e32 v[90:91], v[26:27], v[70:71]
	v_add_f64_e32 v[104:105], v[78:79], v[76:77]
	v_add_f64_e64 v[106:107], v[52:53], -v[50:51]
	v_add_f64_e64 v[70:71], v[70:71], -v[68:69]
	v_add_f64_e32 v[88:89], v[6:7], v[38:39]
	v_add_f64_e64 v[32:33], v[54:55], -v[42:43]
	v_add_f64_e64 v[110:111], v[28:29], -v[44:45]
	;; [unrolled: 1-line block ×10, first 2 shown]
	global_wb scope:SCOPE_SE
	s_wait_dscnt 0x0
	v_add_f64_e32 v[64:65], v[64:65], v[80:81]
	s_barrier_signal -1
	s_barrier_wait -1
	global_inv scope:SCOPE_SE
	v_add_f64_e64 v[50:51], v[50:51], -v[82:83]
	v_add_f64_e64 v[80:81], v[46:47], -v[28:29]
	;; [unrolled: 1-line block ×3, first 2 shown]
	v_add_f64_e32 v[138:139], v[8:9], v[30:31]
	v_add_f64_e64 v[140:141], v[8:9], -v[30:31]
	v_add_f64_e64 v[30:31], v[30:31], -v[2:3]
	;; [unrolled: 1-line block ×4, first 2 shown]
	v_add_f64_e32 v[10:11], v[66:67], v[10:11]
	v_add_f64_e64 v[74:75], v[22:23], -v[74:75]
	v_add_f64_e32 v[48:49], v[82:83], v[48:49]
	v_add_f64_e64 v[82:83], v[34:35], -v[56:57]
	;; [unrolled: 2-line block ×3, first 2 shown]
	v_add_f64_e32 v[28:29], v[46:47], v[28:29]
	v_add_f64_e32 v[22:23], v[22:23], v[98:99]
	v_add_f64_e64 v[34:35], v[40:41], -v[34:35]
	v_add_f64_e64 v[40:41], v[78:79], -v[76:77]
	v_add_f64_e32 v[142:143], v[4:5], v[12:13]
	v_add_f64_e32 v[20:21], v[60:61], v[20:21]
	v_add_f64_e64 v[76:77], v[76:77], -v[16:17]
	v_add_f64_e64 v[78:79], v[16:17], -v[78:79]
	;; [unrolled: 1-line block ×4, first 2 shown]
	v_mul_f64_e32 v[58:59], s[14:15], v[58:59]
	v_mul_f64_e32 v[144:145], s[24:25], v[62:63]
	;; [unrolled: 1-line block ×3, first 2 shown]
	v_add_f64_e32 v[16:17], v[16:17], v[104:105]
	v_mul_f64_e32 v[98:99], s[12:13], v[70:71]
	v_add_f64_e64 v[46:47], v[44:45], -v[46:47]
	v_add_f64_e32 v[18:19], v[88:89], v[18:19]
	v_mul_f64_e32 v[88:89], s[12:13], v[110:111]
	v_add_f64_e64 v[60:61], v[36:37], -v[60:61]
	v_add_f64_e32 v[0:1], v[0:1], v[64:65]
	v_add_f64_e32 v[68:69], v[90:91], v[68:69]
	v_mul_f64_e32 v[146:147], s[12:13], v[135:136]
	v_add_f64_e64 v[8:9], v[2:3], -v[8:9]
	v_mul_f64_e32 v[42:43], s[14:15], v[42:43]
	v_mul_f64_e32 v[50:51], s[14:15], v[50:51]
	;; [unrolled: 1-line block ×6, first 2 shown]
	v_add_f64_e32 v[2:3], v[138:139], v[2:3]
	v_mul_f64_e32 v[90:91], s[26:27], v[116:117]
	v_mul_f64_e32 v[116:117], s[24:25], v[54:55]
	;; [unrolled: 1-line block ×4, first 2 shown]
	v_add_f64_e32 v[100:101], v[100:101], v[48:49]
	v_mul_f64_e32 v[82:83], s[14:15], v[82:83]
	v_add_f64_e32 v[102:103], v[102:103], v[84:85]
	v_mul_f64_e32 v[151:152], s[24:25], v[56:57]
	v_add_f64_e32 v[94:95], v[94:95], v[10:11]
	v_add_f64_e32 v[28:29], v[28:29], v[44:45]
	v_mul_f64_e32 v[44:45], s[14:15], v[72:73]
	v_add_f64_e32 v[155:156], v[14:15], v[22:23]
	v_mul_f64_e32 v[72:73], s[24:25], v[74:75]
	v_add_f64_e64 v[4:5], v[86:87], -v[4:5]
	v_add_f64_e32 v[86:87], v[142:143], v[86:87]
	v_add_f64_e32 v[20:21], v[20:21], v[36:37]
	v_mul_f64_e32 v[36:37], s[14:15], v[76:77]
	v_mul_f64_e32 v[76:77], s[24:25], v[78:79]
	;; [unrolled: 1-line block ×4, first 2 shown]
	v_fma_f64 v[62:63], v[62:63], s[24:25], v[58:59]
	v_fma_f64 v[144:145], v[24:25], s[10:11], -v[144:145]
	s_wait_alu 0xfffe
	v_fma_f64 v[14:15], v[24:25], s[18:19], -v[58:59]
	v_fma_f64 v[24:25], v[26:27], s[22:23], v[96:97]
	v_add_f64_e32 v[58:59], v[149:150], v[16:17]
	v_fma_f64 v[70:71], v[70:71], s[12:13], -v[96:97]
	v_fma_f64 v[26:27], v[26:27], s[20:21], -v[98:99]
	v_fma_f64 v[64:65], v[64:65], s[4:5], v[0:1]
	v_fma_f64 v[54:55], v[54:55], s[24:25], v[42:43]
	;; [unrolled: 1-line block ×4, first 2 shown]
	v_fma_f64 v[80:81], v[110:111], s[12:13], -v[80:81]
	v_fma_f64 v[46:47], v[46:47], s[20:21], -v[88:89]
	;; [unrolled: 1-line block ×4, first 2 shown]
	v_fma_f64 v[88:89], v[60:61], s[22:23], v[90:91]
	v_fma_f64 v[90:91], v[135:136], s[12:13], -v[90:91]
	v_fma_f64 v[60:61], v[60:61], s[20:21], -v[146:147]
	;; [unrolled: 1-line block ×3, first 2 shown]
	v_fma_f64 v[48:49], v[48:49], s[4:5], v[100:101]
	v_fma_f64 v[56:57], v[56:57], s[24:25], v[82:83]
	;; [unrolled: 1-line block ×3, first 2 shown]
	v_fma_f64 v[82:83], v[34:35], s[18:19], -v[82:83]
	v_fma_f64 v[34:35], v[34:35], s[10:11], -v[151:152]
	;; [unrolled: 1-line block ×3, first 2 shown]
	v_fma_f64 v[42:43], v[6:7], s[22:23], v[92:93]
	v_fma_f64 v[38:39], v[38:39], s[12:13], -v[92:93]
	v_fma_f64 v[6:7], v[6:7], s[20:21], -v[153:154]
	v_fma_f64 v[92:93], v[8:9], s[22:23], v[138:139]
	v_fma_f64 v[30:31], v[30:31], s[12:13], -v[138:139]
	v_fma_f64 v[8:9], v[8:9], s[20:21], -v[140:141]
	v_fma_f64 v[10:11], v[10:11], s[4:5], v[94:95]
	v_fma_f64 v[74:75], v[74:75], s[24:25], v[44:45]
	v_fma_f64 v[22:23], v[22:23], s[4:5], v[155:156]
	v_fma_f64 v[72:73], v[108:109], s[10:11], -v[72:73]
	v_fma_f64 v[44:45], v[108:109], s[18:19], -v[44:45]
	v_fma_f64 v[78:79], v[78:79], s[24:25], v[36:37]
	v_fma_f64 v[76:77], v[40:41], s[10:11], -v[76:77]
	v_fma_f64 v[106:107], v[4:5], s[22:23], v[66:67]
	v_fma_f64 v[12:13], v[12:13], s[12:13], -v[66:67]
	v_fma_f64 v[4:5], v[4:5], s[20:21], -v[142:143]
	;; [unrolled: 1-line block ×3, first 2 shown]
	v_fma_f64 v[24:25], v[68:69], s[0:1], v[24:25]
	v_fma_f64 v[16:17], v[16:17], s[4:5], v[58:59]
	v_add_f64_e32 v[62:63], v[62:63], v[64:65]
	v_fma_f64 v[40:41], v[68:69], s[0:1], v[70:71]
	v_fma_f64 v[26:27], v[68:69], s[0:1], v[26:27]
	v_add_f64_e32 v[14:15], v[14:15], v[64:65]
	v_add_f64_e32 v[64:65], v[144:145], v[64:65]
	v_fma_f64 v[66:67], v[28:29], s[0:1], v[98:99]
	v_fma_f64 v[68:69], v[28:29], s[0:1], v[80:81]
	;; [unrolled: 1-line block ×4, first 2 shown]
	v_add_f64_e32 v[46:47], v[52:53], v[48:49]
	v_add_f64_e32 v[50:51], v[50:51], v[48:49]
	;; [unrolled: 1-line block ×3, first 2 shown]
	v_fma_f64 v[52:53], v[20:21], s[0:1], v[88:89]
	v_add_f64_e32 v[56:57], v[56:57], v[84:85]
	v_fma_f64 v[20:21], v[20:21], s[0:1], v[60:61]
	v_add_f64_e32 v[60:61], v[82:83], v[84:85]
	v_add_f64_e32 v[34:35], v[34:35], v[84:85]
	v_fma_f64 v[42:43], v[18:19], s[0:1], v[42:43]
	v_fma_f64 v[38:39], v[18:19], s[0:1], v[38:39]
	;; [unrolled: 1-line block ×6, first 2 shown]
	v_add_f64_e32 v[8:9], v[54:55], v[10:11]
	v_add_f64_e32 v[32:33], v[32:33], v[10:11]
	;; [unrolled: 1-line block ×6, first 2 shown]
	v_fma_f64 v[12:13], v[86:87], s[0:1], v[12:13]
	v_fma_f64 v[4:5], v[86:87], s[0:1], v[4:5]
	;; [unrolled: 1-line block ×3, first 2 shown]
	v_lshlrev_b32_e32 v84, 3, v133
	v_add_f64_e32 v[72:73], v[78:79], v[16:17]
	v_add_f64_e32 v[76:77], v[76:77], v[16:17]
	;; [unrolled: 1-line block ×5, first 2 shown]
	v_add_f64_e64 v[80:81], v[64:65], -v[40:41]
	v_add_f64_e32 v[40:41], v[40:41], v[64:65]
	v_add_f64_e64 v[14:15], v[14:15], -v[26:27]
	v_add_f64_e64 v[24:25], v[62:63], -v[24:25]
	v_mul_u32_u24_e32 v82, 0x540, v148
	v_mul_u32_u24_e32 v83, 0x540, v159
	v_lshlrev_b32_e32 v85, 3, v134
	v_lshlrev_b32_e32 v88, 3, v137
	v_add3_u32 v133, 0, v160, v84
	v_add_f64_e32 v[26:27], v[66:67], v[46:47]
	v_add_f64_e32 v[62:63], v[28:29], v[50:51]
	v_add_f64_e64 v[64:65], v[48:49], -v[68:69]
	v_add_f64_e32 v[48:49], v[68:69], v[48:49]
	v_add_f64_e64 v[28:29], v[50:51], -v[28:29]
	v_add_f64_e64 v[46:47], v[46:47], -v[66:67]
	v_add_f64_e32 v[50:51], v[52:53], v[56:57]
	v_add_f64_e32 v[66:67], v[20:21], v[60:61]
	v_add_f64_e64 v[68:69], v[34:35], -v[70:71]
	v_add_f64_e32 v[34:35], v[70:71], v[34:35]
	v_add_f64_e64 v[20:21], v[60:61], -v[20:21]
	v_add_f64_e64 v[52:53], v[56:57], -v[52:53]
	v_add3_u32 v134, 0, v82, v85
	v_add3_u32 v135, 0, v83, v88
	v_add_f64_e64 v[56:57], v[8:9], -v[42:43]
	v_add_f64_e64 v[60:61], v[32:33], -v[6:7]
	v_add_f64_e32 v[70:71], v[38:39], v[10:11]
	v_add_f64_e64 v[38:39], v[10:11], -v[38:39]
	v_add_f64_e32 v[32:33], v[6:7], v[32:33]
	v_add_f64_e32 v[42:43], v[42:43], v[8:9]
	v_add_f64_e64 v[82:83], v[74:75], -v[18:19]
	v_add_f64_e64 v[84:85], v[44:45], -v[2:3]
	v_add_f64_e32 v[86:87], v[30:31], v[22:23]
	v_add_f64_e64 v[88:89], v[22:23], -v[30:31]
	v_add_f64_e32 v[44:45], v[2:3], v[44:45]
	v_add_f64_e32 v[74:75], v[18:19], v[74:75]
	v_add_f64_e64 v[92:93], v[16:17], -v[4:5]
	v_add_f64_e32 v[96:97], v[12:13], v[76:77]
	v_add_f64_e64 v[76:77], v[76:77], -v[12:13]
	v_add_f64_e32 v[98:99], v[4:5], v[16:17]
	ds_store_2addr_b64 v133, v[0:1], v[36:37] offset1:24
	ds_store_2addr_b64 v133, v[78:79], v[80:81] offset0:48 offset1:72
	ds_store_2addr_b64 v133, v[40:41], v[14:15] offset0:96 offset1:120
	ds_store_b64 v133, v[24:25] offset:1152
	ds_store_2addr_b64 v134, v[100:101], v[26:27] offset1:24
	ds_store_2addr_b64 v134, v[62:63], v[64:65] offset0:48 offset1:72
	ds_store_2addr_b64 v134, v[48:49], v[28:29] offset0:96 offset1:120
	ds_store_b64 v134, v[46:47] offset:1152
	;; [unrolled: 4-line block ×3, first 2 shown]
	global_wb scope:SCOPE_SE
	s_wait_dscnt 0x0
	s_barrier_signal -1
	s_barrier_wait -1
	global_inv scope:SCOPE_SE
	ds_load_2addr_b64 v[0:3], v128 offset1:224
	ds_load_b64 v[108:109], v123
	ds_load_2addr_b64 v[12:15], v132 offset0:104 offset1:160
	ds_load_2addr_b64 v[16:19], v130 offset0:72 offset1:128
	;; [unrolled: 1-line block ×3, first 2 shown]
	ds_load_b64 v[104:105], v127
	ds_load_2addr_b64 v[20:23], v129 offset0:24 offset1:136
	ds_load_2addr_b64 v[8:11], v119 offset0:64 offset1:176
	;; [unrolled: 1-line block ×4, first 2 shown]
	ds_load_b64 v[110:111], v122
	ds_load_b64 v[116:117], v125
	;; [unrolled: 1-line block ×3, first 2 shown]
	v_add_f64_e64 v[90:91], v[72:73], -v[54:55]
	v_add_f64_e32 v[54:55], v[54:55], v[72:73]
	global_wb scope:SCOPE_SE
	s_wait_dscnt 0x0
	s_barrier_signal -1
	s_barrier_wait -1
	global_inv scope:SCOPE_SE
	ds_store_2addr_b64 v133, v[94:95], v[56:57] offset1:24
	ds_store_2addr_b64 v133, v[60:61], v[70:71] offset0:48 offset1:72
	ds_store_2addr_b64 v133, v[38:39], v[32:33] offset0:96 offset1:120
	ds_store_b64 v133, v[42:43] offset:1152
	ds_store_2addr_b64 v134, v[155:156], v[82:83] offset1:24
	ds_store_2addr_b64 v134, v[84:85], v[86:87] offset0:48 offset1:72
	ds_store_2addr_b64 v134, v[88:89], v[44:45] offset0:96 offset1:120
	ds_store_b64 v134, v[74:75] offset:1152
	;; [unrolled: 4-line block ×3, first 2 shown]
	global_wb scope:SCOPE_SE
	s_wait_dscnt 0x0
	s_barrier_signal -1
	s_barrier_wait -1
	global_inv scope:SCOPE_SE
	s_and_saveexec_b32 s28, vcc_lo
	s_cbranch_execz .LBB0_37
; %bb.36:
	v_mul_u32_u24_e32 v32, 6, v126
	v_lshrrev_b32_e32 v118, 3, v126
	v_add_nc_u32_e32 v131, 56, v126
	v_add_nc_u32_e32 v132, 0x70, v126
	v_mul_lo_u32 v134, s3, v114
	v_dual_mov_b32 v33, 0 :: v_dual_lshlrev_b32 v36, 4, v32
	v_mul_i32_i24_e32 v32, 6, v121
	v_mul_hi_u32 v136, 0x18618619, v118
	v_mul_lo_u32 v135, s2, v115
	global_load_b128 v[100:103], v36, s[8:9] offset:2736
	v_add_nc_u32_e32 v133, 0x1800, v128
	v_lshlrev_b64_e32 v[34:35], 4, v[32:33]
	v_mul_i32_i24_e32 v32, 6, v120
	v_mad_co_u64_u32 v[120:121], null, s2, v114, 0
	v_lshrrev_b32_e32 v137, 3, v131
	v_lshrrev_b32_e32 v138, 3, v132
	v_add_co_u32 v34, vcc_lo, s8, v34
	s_wait_alu 0xfffd
	v_add_co_ci_u32_e32 v35, vcc_lo, s9, v35, vcc_lo
	v_lshlrev_b64_e32 v[32:33], 4, v[32:33]
	s_clause 0x8
	global_load_b128 v[96:99], v[34:35], off offset:2720
	global_load_b128 v[92:95], v36, s[8:9] offset:2656
	global_load_b128 v[88:91], v36, s[8:9] offset:2672
	;; [unrolled: 1-line block ×5, first 2 shown]
	global_load_b128 v[72:75], v[34:35], off offset:2736
	global_load_b128 v[68:71], v[34:35], off offset:2656
	;; [unrolled: 1-line block ×3, first 2 shown]
	v_lshrrev_b32_e32 v136, 1, v136
	v_add3_u32 v121, v121, v135, v134
	v_add_co_u32 v32, vcc_lo, s8, v32
	s_wait_alu 0xfffd
	v_add_co_ci_u32_e32 v33, vcc_lo, s9, v33, vcc_lo
	s_clause 0x7
	global_load_b128 v[40:43], v[34:35], off offset:2704
	global_load_b128 v[44:47], v[34:35], off offset:2688
	;; [unrolled: 1-line block ×8, first 2 shown]
	ds_load_b64 v[114:115], v123
	ds_load_b64 v[118:119], v122
	v_lshlrev_b64_e32 v[122:123], 4, v[112:113]
	v_mul_hi_u32 v134, 0x18618619, v137
	v_mul_hi_u32 v135, 0x18618619, v138
	ds_load_b64 v[112:113], v125
	ds_load_b64 v[124:125], v124
	ds_load_2addr_b64 v[137:140], v133 offset0:184 offset1:240
	ds_load_2addr_b64 v[141:144], v133 offset0:72 offset1:128
	v_mul_lo_u32 v133, 0xa8, v136
	v_lshlrev_b64_e32 v[120:121], 4, v[120:121]
	v_lshrrev_b32_e32 v136, 1, v134
	v_lshrrev_b32_e32 v155, 1, v135
	s_delay_alu instid0(VALU_DEP_3) | instskip(SKIP_1) | instid1(VALU_DEP_4)
	v_add_co_u32 v120, vcc_lo, s6, v120
	v_sub_nc_u32_e32 v156, v126, v133
	v_mul_lo_u32 v135, 0xa8, v136
	s_delay_alu instid0(VALU_DEP_4)
	v_mul_lo_u32 v145, 0xa8, v155
	s_wait_alu 0xfffd
	v_add_co_ci_u32_e32 v134, vcc_lo, s7, v121, vcc_lo
	v_add_nc_u32_e32 v168, 0x2a0, v156
	v_add_co_u32 v121, vcc_lo, v120, v122
	s_wait_alu 0xfffd
	s_delay_alu instid0(VALU_DEP_3) | instskip(NEXT) | instid1(VALU_DEP_3)
	v_add_co_ci_u32_e32 v120, vcc_lo, v134, v123, vcc_lo
	v_mad_co_u64_u32 v[147:148], null, s16, v168, 0
	v_add_nc_u32_e32 v164, 0xa8, v156
	v_sub_nc_u32_e32 v126, v131, v135
	v_sub_nc_u32_e32 v131, v132, v145
	v_mad_co_u64_u32 v[122:123], null, s16, v156, 0
	s_delay_alu instid0(VALU_DEP_4) | instskip(SKIP_4) | instid1(VALU_DEP_4)
	v_mad_co_u64_u32 v[132:133], null, s16, v164, 0
	v_add_nc_u32_e32 v169, 0x348, v156
	v_mad_co_u64_u32 v[153:154], null, 0x498, v136, v[126:127]
	v_add_nc_u32_e32 v167, 0x1f8, v156
	v_add_nc_u32_e32 v170, 0x3f0, v156
	v_mad_co_u64_u32 v[149:150], null, s16, v169, 0
	v_mad_co_u64_u32 v[154:155], null, 0x498, v155, v[131:132]
	v_add_nc_u32_e32 v166, 0x150, v156
	s_wait_dscnt 0x2
	v_mad_co_u64_u32 v[155:156], null, s17, v156, v[123:124]
	v_mad_co_u64_u32 v[145:146], null, s16, v167, 0
	s_delay_alu instid0(VALU_DEP_3) | instskip(SKIP_4) | instid1(VALU_DEP_4)
	v_mad_co_u64_u32 v[134:135], null, s16, v166, 0
	v_dual_mov_b32 v123, v133 :: v_dual_add_nc_u32 v130, 0x1000, v128
	v_mov_b32_e32 v133, v148
	v_mad_co_u64_u32 v[158:159], null, s16, v153, 0
	v_mov_b32_e32 v131, v146
	v_mad_co_u64_u32 v[164:165], null, s17, v164, v[123:124]
	v_dual_mov_b32 v126, v135 :: v_dual_mov_b32 v135, v150
	v_mov_b32_e32 v123, v155
	v_mad_co_u64_u32 v[162:163], null, s16, v154, 0
	s_delay_alu instid0(VALU_DEP_3)
	v_mad_co_u64_u32 v[165:166], null, s17, v166, v[126:127]
	v_mad_co_u64_u32 v[166:167], null, s17, v167, v[131:132]
	;; [unrolled: 1-line block ×3, first 2 shown]
	v_mov_b32_e32 v133, v164
	v_mad_co_u64_u32 v[151:152], null, s16, v170, 0
	v_add_nc_u32_e32 v181, 0x2a0, v153
	v_add_nc_u32_e32 v180, 0x1f8, v153
	;; [unrolled: 1-line block ×3, first 2 shown]
	v_mov_b32_e32 v148, v167
	v_mov_b32_e32 v146, v166
	v_lshlrev_b64_e32 v[131:132], 4, v[132:133]
	v_mov_b32_e32 v136, v152
	s_delay_alu instid0(VALU_DEP_1) | instskip(SKIP_1) | instid1(VALU_DEP_2)
	v_mad_co_u64_u32 v[168:169], null, s17, v169, v[135:136]
	v_mov_b32_e32 v135, v165
	v_dual_mov_b32 v150, v168 :: v_dual_add_nc_u32 v179, 0x150, v153
	s_wait_loadcnt_dscnt 0x1101
	v_mul_f64_e32 v[156:157], v[102:103], v[139:140]
	v_mul_f64_e32 v[139:140], v[100:101], v[139:140]
	s_wait_loadcnt 0x10
	v_mul_f64_e32 v[160:161], v[98:99], v[137:138]
	v_mul_f64_e32 v[137:138], v[96:97], v[137:138]
	s_wait_loadcnt 0xe
	v_mul_f64_e32 v[185:186], v[90:91], v[118:119]
	s_wait_loadcnt 0xd
	v_mul_f64_e32 v[189:190], v[86:87], v[114:115]
	v_mul_f64_e32 v[191:192], v[84:85], v[114:115]
	;; [unrolled: 1-line block ×3, first 2 shown]
	v_fma_f64 v[156:157], v[30:31], v[100:101], -v[156:157]
	v_fma_f64 v[102:103], v[30:31], v[102:103], v[139:140]
	v_mov_b32_e32 v30, v159
	v_mad_co_u64_u32 v[139:140], null, s16, v178, 0
	v_mad_co_u64_u32 v[174:175], null, s16, v181, 0
	s_delay_alu instid0(VALU_DEP_3)
	v_mad_co_u64_u32 v[30:31], null, s17, v153, v[30:31]
	v_mov_b32_e32 v31, v163
	v_mad_co_u64_u32 v[169:170], null, s17, v170, v[136:137]
	v_fma_f64 v[136:137], v[28:29], v[98:99], v[137:138]
	v_mad_co_u64_u32 v[170:171], null, s16, v179, 0
	s_wait_loadcnt 0x0
	v_mad_co_u64_u32 v[98:99], null, s17, v154, v[31:32]
	v_mul_f64_e32 v[99:100], v[94:95], v[112:113]
	v_mul_f64_e32 v[112:113], v[92:93], v[112:113]
	v_mad_co_u64_u32 v[172:173], null, s16, v180, 0
	v_add_nc_u32_e32 v182, 0x348, v153
	v_dual_mov_b32 v152, v169 :: v_dual_add_nc_u32 v183, 0x3f0, v153
	v_add_nc_u32_e32 v193, 0x1f8, v154
	v_fma_f64 v[160:161], v[28:29], v[96:97], -v[160:161]
	v_mov_b32_e32 v28, v140
	s_delay_alu instid0(VALU_DEP_4)
	v_mad_co_u64_u32 v[176:177], null, s16, v183, 0
	v_mov_b32_e32 v29, v171
	v_mad_co_u64_u32 v[164:165], null, s16, v182, 0
	v_dual_mov_b32 v97, v175 :: v_dual_add_nc_u32 v184, 0xa8, v154
	v_dual_mov_b32 v96, v173 :: v_dual_add_nc_u32 v195, 0x348, v154
	v_add_nc_u32_e32 v126, 0x150, v154
	v_dual_mov_b32 v159, v30 :: v_dual_add_nc_u32 v194, 0x2a0, v154
	v_dual_mov_b32 v163, v98 :: v_dual_add_nc_u32 v196, 0x3f0, v154
	v_mad_co_u64_u32 v[153:154], null, s17, v178, v[28:29]
	v_mad_co_u64_u32 v[154:155], null, s17, v179, v[29:30]
	;; [unrolled: 1-line block ×4, first 2 shown]
	v_lshlrev_b64_e32 v[96:97], 4, v[122:123]
	v_mad_co_u64_u32 v[166:167], null, s16, v184, 0
	v_mov_b32_e32 v29, v177
	v_mad_co_u64_u32 v[168:169], null, s16, v126, 0
	v_mov_b32_e32 v28, v165
	v_dual_mov_b32 v140, v153 :: v_dual_mov_b32 v171, v154
	s_delay_alu instid0(VALU_DEP_4) | instskip(NEXT) | instid1(VALU_DEP_3)
	v_mad_co_u64_u32 v[180:181], null, s17, v183, v[29:30]
	v_mad_co_u64_u32 v[122:123], null, s17, v182, v[28:29]
	v_add_co_u32 v28, vcc_lo, v121, v96
	s_wait_alu 0xfffd
	v_add_co_ci_u32_e32 v29, vcc_lo, v120, v97, vcc_lo
	v_lshlrev_b64_e32 v[97:98], 4, v[134:135]
	v_mov_b32_e32 v96, v167
	v_add_co_u32 v30, vcc_lo, v121, v131
	s_wait_alu 0xfffd
	v_add_co_ci_u32_e32 v31, vcc_lo, v120, v132, vcc_lo
	v_lshlrev_b64_e32 v[131:132], 4, v[145:146]
	v_lshlrev_b64_e32 v[145:146], 4, v[149:150]
	v_mad_co_u64_u32 v[149:150], null, s17, v184, v[96:97]
	v_fma_f64 v[183:184], v[116:117], v[94:95], v[112:113]
	ds_load_2addr_b64 v[112:115], v130 offset0:104 offset1:160
	v_lshlrev_b64_e32 v[133:134], 4, v[147:148]
	v_lshlrev_b64_e32 v[147:148], 4, v[151:152]
	v_fma_f64 v[150:151], v[116:117], v[92:93], -v[99:100]
	v_add_nc_u32_e32 v117, 0x2000, v128
	v_add_co_u32 v92, vcc_lo, v121, v97
	s_wait_alu 0xfffd
	v_add_co_ci_u32_e32 v93, vcc_lo, v120, v98, vcc_lo
	v_add_co_u32 v94, vcc_lo, v121, v131
	s_wait_alu 0xfffd
	v_add_co_ci_u32_e32 v95, vcc_lo, v120, v132, vcc_lo
	;; [unrolled: 3-line block ×4, first 2 shown]
	s_wait_dscnt 0x0
	v_mul_f64_e32 v[154:155], v[82:83], v[114:115]
	v_mul_f64_e32 v[114:115], v[80:81], v[114:115]
	;; [unrolled: 1-line block ×4, first 2 shown]
	v_mad_co_u64_u32 v[181:182], null, s16, v193, 0
	v_mov_b32_e32 v123, v169
	v_add_co_u32 v100, vcc_lo, v121, v147
	v_mov_b32_e32 v173, v178
	s_wait_alu 0xfffd
	v_add_co_ci_u32_e32 v101, vcc_lo, v120, v148, vcc_lo
	v_mov_b32_e32 v116, v182
	v_mad_co_u64_u32 v[130:131], null, s17, v126, v[123:124]
	v_mad_co_u64_u32 v[147:148], null, s16, v195, 0
	s_delay_alu instid0(VALU_DEP_3)
	v_mad_co_u64_u32 v[131:132], null, s17, v193, v[116:117]
	v_mad_co_u64_u32 v[132:133], null, s16, v194, 0
	v_mov_b32_e32 v175, v179
	v_mad_co_u64_u32 v[178:179], null, s16, v196, 0
	v_fma_f64 v[134:135], v[110:111], v[88:89], -v[185:186]
	v_dual_mov_b32 v89, v148 :: v_dual_mov_b32 v182, v131
	v_mov_b32_e32 v88, v133
	v_fma_f64 v[152:153], v[108:109], v[84:85], -v[189:190]
	v_fma_f64 v[108:109], v[108:109], v[86:87], v[191:192]
	v_mov_b32_e32 v165, v122
	v_mov_b32_e32 v177, v180
	v_mad_co_u64_u32 v[122:123], null, s17, v194, v[88:89]
	ds_load_2addr_b64 v[84:87], v129 offset0:24 offset1:136
	v_dual_mov_b32 v167, v149 :: v_dual_mov_b32 v88, v179
	v_mad_co_u64_u32 v[148:149], null, s17, v195, v[89:90]
	v_fma_f64 v[154:155], v[14:15], v[80:81], -v[154:155]
	v_fma_f64 v[82:83], v[14:15], v[82:83], v[114:115]
	v_lshlrev_b64_e32 v[14:15], 4, v[158:159]
	v_add_nc_u32_e32 v89, 0xc00, v128
	v_mov_b32_e32 v169, v130
	v_fma_f64 v[129:130], v[16:17], v[76:77], -v[145:146]
	v_fma_f64 v[141:142], v[16:17], v[78:79], v[141:142]
	v_add_nc_u32_e32 v16, 0x1400, v128
	v_add_co_u32 v76, vcc_lo, v121, v14
	ds_load_2addr_b64 v[116:119], v117 offset0:40 offset1:96
	v_fma_f64 v[110:111], v[110:111], v[90:91], v[187:188]
	v_mad_co_u64_u32 v[179:180], null, s17, v196, v[88:89]
	ds_load_2addr_b64 v[88:91], v89 offset0:64 offset1:176
	s_wait_alu 0xfffd
	v_add_co_ci_u32_e32 v77, vcc_lo, v120, v15, vcc_lo
	ds_load_2addr_b64 v[78:81], v16 offset0:88 offset1:144
	ds_load_2addr_b64 v[14:17], v128 offset1:224
	v_mov_b32_e32 v133, v122
	s_wait_dscnt 0x4
	v_mul_f64_e32 v[145:146], v[70:71], v[84:85]
	v_mul_f64_e32 v[84:85], v[68:69], v[84:85]
	;; [unrolled: 1-line block ×8, first 2 shown]
	v_lshlrev_b64_e32 v[138:139], 4, v[139:140]
	s_wait_dscnt 0x3
	v_mul_f64_e32 v[122:123], v[74:75], v[118:119]
	v_mul_f64_e32 v[118:119], v[72:73], v[118:119]
	;; [unrolled: 1-line block ×4, first 2 shown]
	s_wait_dscnt 0x2
	v_mul_f64_e32 v[114:115], v[66:67], v[88:89]
	v_mul_f64_e32 v[88:89], v[64:65], v[88:89]
	;; [unrolled: 1-line block ×3, first 2 shown]
	s_wait_dscnt 0x1
	v_mul_f64_e32 v[158:159], v[42:43], v[80:81]
	s_wait_dscnt 0x0
	v_mul_f64_e32 v[191:192], v[60:61], v[16:17]
	v_mul_f64_e32 v[199:200], v[62:63], v[16:17]
	;; [unrolled: 1-line block ×6, first 2 shown]
	v_lshlrev_b64_e32 v[16:17], 4, v[147:148]
	v_fma_f64 v[145:146], v[20:21], v[68:69], -v[145:146]
	v_fma_f64 v[84:85], v[20:21], v[70:71], v[84:85]
	v_lshlrev_b64_e32 v[20:21], 4, v[132:133]
	v_fma_f64 v[50:51], v[22:23], v[50:51], v[86:87]
	v_fma_f64 v[58:59], v[18:19], v[58:59], v[193:194]
	v_fma_f64 v[22:23], v[22:23], v[48:49], -v[189:190]
	v_fma_f64 v[18:19], v[18:19], v[56:57], -v[143:144]
	;; [unrolled: 1-line block ×3, first 2 shown]
	v_fma_f64 v[12:13], v[12:13], v[46:47], v[112:113]
	v_add_f64_e32 v[46:47], v[183:184], v[102:103]
	v_fma_f64 v[122:123], v[26:27], v[72:73], -v[122:123]
	v_fma_f64 v[118:119], v[26:27], v[74:75], v[118:119]
	ds_load_b64 v[74:75], v127
	v_fma_f64 v[54:55], v[24:25], v[54:55], v[116:117]
	v_fma_f64 v[114:115], v[8:9], v[64:65], -v[114:115]
	v_fma_f64 v[88:89], v[8:9], v[66:67], v[88:89]
	v_fma_f64 v[24:25], v[24:25], v[52:53], -v[187:188]
	v_lshlrev_b64_e32 v[126:127], 4, v[162:163]
	v_fma_f64 v[62:63], v[2:3], v[62:63], v[191:192]
	v_fma_f64 v[60:61], v[2:3], v[60:61], -v[199:200]
	v_fma_f64 v[40:41], v[6:7], v[40:41], -v[158:159]
	v_fma_f64 v[42:43], v[6:7], v[42:43], v[80:81]
	v_add_f64_e32 v[48:49], v[110:111], v[141:142]
	v_add_f64_e32 v[52:53], v[150:151], v[156:157]
	;; [unrolled: 1-line block ×3, first 2 shown]
	v_add_co_u32 v2, vcc_lo, v121, v126
	s_wait_alu 0xfffd
	v_add_co_ci_u32_e32 v3, vcc_lo, v120, v127, vcc_lo
	v_add_co_u32 v6, vcc_lo, v121, v138
	s_wait_alu 0xfffd
	v_add_co_ci_u32_e32 v7, vcc_lo, v120, v139, vcc_lo
	v_fma_f64 v[32:33], v[4:5], v[32:33], -v[197:198]
	v_fma_f64 v[36:37], v[10:11], v[36:37], -v[195:196]
	v_fma_f64 v[38:39], v[10:11], v[38:39], v[90:91]
	v_fma_f64 v[34:35], v[4:5], v[34:35], v[78:79]
	v_add_f64_e64 v[78:79], v[150:151], -v[156:157]
	v_add_f64_e64 v[80:81], v[154:155], -v[152:153]
	;; [unrolled: 1-line block ×3, first 2 shown]
	v_add_f64_e32 v[90:91], v[82:83], v[108:109]
	v_add_f64_e64 v[82:83], v[82:83], -v[108:109]
	v_add_f64_e64 v[108:109], v[110:111], -v[141:142]
	v_add_f64_e32 v[132:133], v[50:51], v[58:59]
	v_add_f64_e32 v[138:139], v[22:23], v[18:19]
	v_add_f64_e32 v[112:113], v[154:155], v[152:153]
	v_add_f64_e64 v[102:103], v[183:184], -v[102:103]
	v_add_f64_e64 v[18:19], v[22:23], -v[18:19]
	v_add_f64_e32 v[128:129], v[145:146], v[122:123]
	v_add_f64_e32 v[116:117], v[84:85], v[118:119]
	v_add_f64_e64 v[122:123], v[145:146], -v[122:123]
	v_lshlrev_b64_e32 v[162:163], 4, v[170:171]
	v_add_f64_e32 v[130:131], v[114:115], v[160:161]
	v_add_f64_e32 v[126:127], v[88:89], v[136:137]
	v_add_f64_e64 v[114:115], v[114:115], -v[160:161]
	v_lshlrev_b64_e32 v[170:171], 4, v[172:173]
	v_add_f64_e32 v[110:111], v[62:63], v[54:55]
	v_add_f64_e32 v[134:135], v[60:61], v[24:25]
	v_add_f64_e64 v[140:141], v[40:41], -v[44:45]
	v_add_f64_e32 v[142:143], v[42:43], v[12:13]
	v_add_f64_e32 v[40:41], v[40:41], v[44:45]
	v_add_f64_e64 v[44:45], v[84:85], -v[118:119]
	v_add_f64_e64 v[12:13], v[42:43], -v[12:13]
	;; [unrolled: 1-line block ×3, first 2 shown]
	v_add_f64_e32 v[84:85], v[46:47], v[48:49]
	v_add_f64_e32 v[88:89], v[52:53], v[56:57]
	v_add_f64_e64 v[24:25], v[60:61], -v[24:25]
	v_add_co_u32 v4, vcc_lo, v121, v162
	s_wait_alu 0xfffd
	v_add_co_ci_u32_e32 v5, vcc_lo, v120, v163, vcc_lo
	v_add_co_u32 v10, vcc_lo, v121, v170
	v_add_f64_e64 v[60:61], v[32:33], -v[36:37]
	v_add_f64_e32 v[22:23], v[34:35], v[38:39]
	v_add_f64_e32 v[32:33], v[32:33], v[36:37]
	v_add_f64_e64 v[36:37], v[62:63], -v[54:55]
	v_add_f64_e64 v[34:35], v[34:35], -v[38:39]
	;; [unrolled: 1-line block ×5, first 2 shown]
	v_add_f64_e32 v[58:59], v[80:81], v[86:87]
	v_add_f64_e64 v[62:63], v[46:47], -v[90:91]
	v_add_f64_e64 v[136:137], v[90:91], -v[48:49]
	;; [unrolled: 1-line block ×7, first 2 shown]
	v_add_f64_e32 v[82:83], v[82:83], v[108:109]
	v_add_f64_e32 v[118:119], v[128:129], v[130:131]
	;; [unrolled: 1-line block ×3, first 2 shown]
	v_add_f64_e64 v[86:87], v[86:87], -v[78:79]
	v_add_f64_e64 v[52:53], v[56:57], -v[52:53]
	v_add_f64_e32 v[152:153], v[110:111], v[132:133]
	v_add_f64_e32 v[48:49], v[134:135], v[138:139]
	v_add_f64_e64 v[56:57], v[108:109], -v[102:103]
	v_add_f64_e64 v[154:155], v[140:141], -v[114:115]
	v_lshlrev_b64_e32 v[72:73], 4, v[174:175]
	v_lshlrev_b64_e32 v[66:67], 4, v[166:167]
	;; [unrolled: 1-line block ×3, first 2 shown]
	s_wait_alu 0xfffd
	v_add_co_ci_u32_e32 v11, vcc_lo, v120, v171, vcc_lo
	v_add_f64_e32 v[84:85], v[90:91], v[84:85]
	v_add_f64_e32 v[88:89], v[112:113], v[88:89]
	v_add_f64_e64 v[108:109], v[122:123], -v[140:141]
	v_add_f64_e32 v[140:141], v[140:141], v[114:115]
	v_add_f64_e64 v[156:157], v[116:117], -v[142:143]
	v_add_f64_e64 v[158:159], v[142:143], -v[126:127]
	;; [unrolled: 1-line block ×5, first 2 shown]
	v_add_f64_e32 v[168:169], v[12:13], v[42:43]
	v_add_f64_e64 v[114:115], v[114:115], -v[122:123]
	v_add_f64_e64 v[42:43], v[42:43], -v[44:45]
	;; [unrolled: 1-line block ×6, first 2 shown]
	v_add_f64_e32 v[60:61], v[60:61], v[18:19]
	v_add_f64_e64 v[130:131], v[22:23], -v[132:133]
	v_add_f64_e64 v[170:171], v[34:35], -v[38:39]
	;; [unrolled: 1-line block ×4, first 2 shown]
	v_add_f64_e32 v[34:35], v[34:35], v[38:39]
	v_mul_f64_e32 v[38:39], s[26:27], v[54:55]
	v_mul_f64_e32 v[54:55], s[24:25], v[136:137]
	v_add_f64_e64 v[128:129], v[110:111], -v[22:23]
	v_add_f64_e32 v[40:41], v[40:41], v[118:119]
	v_add_f64_e32 v[80:81], v[142:143], v[80:81]
	v_add_f64_e64 v[142:143], v[32:33], -v[138:139]
	v_add_f64_e64 v[18:19], v[18:19], -v[24:25]
	v_add_f64_e32 v[136:137], v[22:23], v[152:153]
	v_add_f64_e32 v[48:49], v[32:33], v[48:49]
	v_add_f64_e64 v[118:119], v[134:135], -v[32:33]
	v_lshlrev_b64_e32 v[70:71], 4, v[164:165]
	v_lshlrev_b64_e32 v[68:69], 4, v[176:177]
	;; [unrolled: 1-line block ×4, first 2 shown]
	v_add_f64_e64 v[164:165], v[44:45], -v[12:13]
	v_mul_f64_e32 v[146:147], s[24:25], v[146:147]
	v_mul_f64_e32 v[150:151], s[26:27], v[150:151]
	;; [unrolled: 1-line block ×6, first 2 shown]
	v_add_f64_e32 v[58:59], v[78:79], v[58:59]
	v_add_f64_e32 v[78:79], v[102:103], v[82:83]
	v_mul_f64_e32 v[82:83], s[26:27], v[154:155]
	v_add_f64_e32 v[14:15], v[14:15], v[84:85]
	v_add_f64_e32 v[12:13], v[0:1], v[88:89]
	v_add_f64_e64 v[110:111], v[132:133], -v[110:111]
	v_add_f64_e64 v[132:133], v[138:139], -v[134:135]
	v_mul_f64_e32 v[102:103], s[24:25], v[158:159]
	v_mul_f64_e32 v[134:135], s[24:25], v[162:163]
	;; [unrolled: 1-line block ×8, first 2 shown]
	v_add_f64_e32 v[60:61], v[24:25], v[60:61]
	v_mul_f64_e32 v[166:167], s[26:27], v[170:171]
	v_add_f64_e32 v[36:37], v[36:37], v[34:35]
	v_add_f64_e32 v[122:123], v[122:123], v[140:141]
	;; [unrolled: 1-line block ×5, first 2 shown]
	v_mul_f64_e32 v[106:107], s[24:25], v[130:131]
	v_mul_f64_e32 v[124:125], s[24:25], v[142:143]
	s_wait_dscnt 0x0
	v_add_f64_e32 v[34:35], v[74:75], v[136:137]
	v_add_f64_e32 v[32:33], v[104:105], v[48:49]
	v_mul_f64_e32 v[140:141], s[14:15], v[128:129]
	v_mul_f64_e32 v[168:169], s[12:13], v[18:19]
	;; [unrolled: 1-line block ×4, first 2 shown]
	v_fma_f64 v[142:143], v[50:51], s[22:23], v[38:39]
	v_fma_f64 v[62:63], v[62:63], s[14:15], v[54:55]
	;; [unrolled: 1-line block ×4, first 2 shown]
	v_fma_f64 v[50:51], v[50:51], s[20:21], -v[152:153]
	v_fma_f64 v[104:105], v[46:47], s[18:19], -v[176:177]
	;; [unrolled: 1-line block ×8, first 2 shown]
	v_fma_f64 v[56:57], v[108:109], s[22:23], v[82:83]
	v_fma_f64 v[84:85], v[84:85], s[4:5], v[14:15]
	;; [unrolled: 1-line block ×4, first 2 shown]
	v_fma_f64 v[82:83], v[114:115], s[12:13], -v[82:83]
	v_fma_f64 v[146:147], v[160:161], s[14:15], v[134:135]
	v_fma_f64 v[108:109], v[108:109], s[20:21], -v[154:155]
	v_fma_f64 v[154:155], v[164:165], s[20:21], -v[158:159]
	;; [unrolled: 1-line block ×6, first 2 shown]
	v_fma_f64 v[112:113], v[116:117], s[22:23], v[126:127]
	v_fma_f64 v[114:115], v[174:175], s[22:23], v[166:167]
	;; [unrolled: 1-line block ×3, first 2 shown]
	v_fma_f64 v[42:43], v[42:43], s[12:13], -v[138:139]
	v_fma_f64 v[40:41], v[40:41], s[4:5], v[22:23]
	v_fma_f64 v[80:81], v[80:81], s[4:5], v[24:25]
	;; [unrolled: 1-line block ×6, first 2 shown]
	v_fma_f64 v[138:139], v[110:111], s[18:19], -v[140:141]
	v_fma_f64 v[116:117], v[116:117], s[20:21], -v[168:169]
	;; [unrolled: 1-line block ×8, first 2 shown]
	v_add_co_u32 v132, vcc_lo, v121, v72
	s_wait_alu 0xfffd
	v_add_co_ci_u32_e32 v133, vcc_lo, v120, v73, vcc_lo
	v_fma_f64 v[72:73], v[58:59], s[0:1], v[142:143]
	v_fma_f64 v[124:125], v[78:79], s[0:1], v[144:145]
	;; [unrolled: 1-line block ×7, first 2 shown]
	v_add_f64_e32 v[56:57], v[62:63], v[84:85]
	v_add_f64_e32 v[62:63], v[74:75], v[88:89]
	;; [unrolled: 1-line block ×6, first 2 shown]
	v_fma_f64 v[108:109], v[122:123], s[0:1], v[108:109]
	v_fma_f64 v[148:149], v[44:45], s[0:1], v[154:155]
	;; [unrolled: 1-line block ×7, first 2 shown]
	v_add_f64_e32 v[146:147], v[146:147], v[40:41]
	v_add_f64_e32 v[154:155], v[86:87], v[80:81]
	;; [unrolled: 1-line block ×7, first 2 shown]
	v_fma_f64 v[114:115], v[60:61], s[0:1], v[116:117]
	v_fma_f64 v[134:135], v[36:37], s[0:1], v[134:135]
	v_add_f64_e32 v[116:117], v[138:139], v[136:137]
	v_fma_f64 v[18:19], v[60:61], s[0:1], v[18:19]
	v_fma_f64 v[86:87], v[36:37], s[0:1], v[126:127]
	v_add_f64_e32 v[126:127], v[130:131], v[48:49]
	v_add_f64_e32 v[106:107], v[106:107], v[136:137]
	v_add_f64_e32 v[128:129], v[110:111], v[48:49]
	v_add_f64_e32 v[156:157], v[156:157], v[40:41]
	v_add_co_u32 v130, vcc_lo, v121, v70
	s_wait_alu 0xfffd
	v_add_co_ci_u32_e32 v131, vcc_lo, v120, v71, vcc_lo
	v_add_co_u32 v136, vcc_lo, v121, v68
	s_wait_alu 0xfffd
	v_add_co_ci_u32_e32 v137, vcc_lo, v120, v69, vcc_lo
	v_add_co_u32 v138, vcc_lo, v121, v66
	v_add_f64_e32 v[38:39], v[72:73], v[56:57]
	v_add_f64_e32 v[42:43], v[140:141], v[58:59]
	;; [unrolled: 1-line block ×3, first 2 shown]
	v_add_f64_e64 v[48:49], v[52:53], -v[54:55]
	v_add_f64_e64 v[54:55], v[58:59], -v[140:141]
	;; [unrolled: 1-line block ×3, first 2 shown]
	v_add_f64_e32 v[56:57], v[124:125], v[62:63]
	v_add_f64_e32 v[52:53], v[142:143], v[74:75]
	v_add_f64_e64 v[46:47], v[84:85], -v[50:51]
	v_add_f64_e32 v[50:51], v[50:51], v[84:85]
	v_add_f64_e64 v[40:41], v[74:75], -v[142:143]
	v_add_f64_e64 v[36:37], v[62:63], -v[124:125]
	s_wait_alu 0xfffd
	v_add_co_ci_u32_e32 v139, vcc_lo, v120, v67, vcc_lo
	v_add_f64_e32 v[68:69], v[108:109], v[0:1]
	v_add_f64_e64 v[84:85], v[0:1], -v[108:109]
	v_add_f64_e64 v[72:73], v[80:81], -v[82:83]
	v_add_f64_e32 v[88:89], v[122:123], v[102:103]
	v_add_f64_e64 v[124:125], v[102:103], -v[122:123]
	v_add_f64_e32 v[122:123], v[152:153], v[118:119]
	v_add_f64_e32 v[80:81], v[82:83], v[80:81]
	v_add_f64_e32 v[104:105], v[114:115], v[116:117]
	v_add_f64_e64 v[116:117], v[116:117], -v[114:115]
	v_add_f64_e32 v[62:63], v[78:79], v[154:155]
	v_add_f64_e32 v[114:115], v[134:135], v[126:127]
	;; [unrolled: 1-line block ×3, first 2 shown]
	v_add_f64_e64 v[110:111], v[128:129], -v[86:87]
	v_add_f64_e64 v[108:109], v[106:107], -v[18:19]
	v_add_f64_e32 v[106:107], v[86:87], v[128:129]
	v_add_f64_e64 v[102:103], v[126:127], -v[134:135]
	v_add_f64_e64 v[86:87], v[118:119], -v[152:153]
	;; [unrolled: 1-line block ×3, first 2 shown]
	v_add_f64_e32 v[126:127], v[144:145], v[146:147]
	v_add_f64_e32 v[82:83], v[148:149], v[156:157]
	v_add_f64_e64 v[78:79], v[90:91], -v[150:151]
	v_add_f64_e32 v[70:71], v[150:151], v[90:91]
	v_add_f64_e64 v[66:67], v[156:157], -v[148:149]
	v_add_f64_e64 v[60:61], v[146:147], -v[144:145]
	v_add_co_u32 v0, vcc_lo, v121, v64
	s_wait_alu 0xfffd
	v_add_co_ci_u32_e32 v1, vcc_lo, v120, v65, vcc_lo
	v_add_co_u32 v18, vcc_lo, v121, v26
	s_wait_alu 0xfffd
	v_add_co_ci_u32_e32 v19, vcc_lo, v120, v27, vcc_lo
	;; [unrolled: 3-line block ×5, first 2 shown]
	s_clause 0x14
	global_store_b128 v[28:29], v[12:15], off
	global_store_b128 v[30:31], v[56:59], off
	;; [unrolled: 1-line block ×21, first 2 shown]
.LBB0_37:
	s_nop 0
	s_sendmsg sendmsg(MSG_DEALLOC_VGPRS)
	s_endpgm
	.section	.rodata,"a",@progbits
	.p2align	6, 0x0
	.amdhsa_kernel fft_rtc_fwd_len1176_factors_2_2_2_3_7_7_wgs_56_tpt_56_halfLds_dp_op_CI_CI_sbrr_dirReg
		.amdhsa_group_segment_fixed_size 0
		.amdhsa_private_segment_fixed_size 0
		.amdhsa_kernarg_size 104
		.amdhsa_user_sgpr_count 2
		.amdhsa_user_sgpr_dispatch_ptr 0
		.amdhsa_user_sgpr_queue_ptr 0
		.amdhsa_user_sgpr_kernarg_segment_ptr 1
		.amdhsa_user_sgpr_dispatch_id 0
		.amdhsa_user_sgpr_private_segment_size 0
		.amdhsa_wavefront_size32 1
		.amdhsa_uses_dynamic_stack 0
		.amdhsa_enable_private_segment 0
		.amdhsa_system_sgpr_workgroup_id_x 1
		.amdhsa_system_sgpr_workgroup_id_y 0
		.amdhsa_system_sgpr_workgroup_id_z 0
		.amdhsa_system_sgpr_workgroup_info 0
		.amdhsa_system_vgpr_workitem_id 0
		.amdhsa_next_free_vgpr 201
		.amdhsa_next_free_sgpr 43
		.amdhsa_reserve_vcc 1
		.amdhsa_float_round_mode_32 0
		.amdhsa_float_round_mode_16_64 0
		.amdhsa_float_denorm_mode_32 3
		.amdhsa_float_denorm_mode_16_64 3
		.amdhsa_fp16_overflow 0
		.amdhsa_workgroup_processor_mode 1
		.amdhsa_memory_ordered 1
		.amdhsa_forward_progress 0
		.amdhsa_round_robin_scheduling 0
		.amdhsa_exception_fp_ieee_invalid_op 0
		.amdhsa_exception_fp_denorm_src 0
		.amdhsa_exception_fp_ieee_div_zero 0
		.amdhsa_exception_fp_ieee_overflow 0
		.amdhsa_exception_fp_ieee_underflow 0
		.amdhsa_exception_fp_ieee_inexact 0
		.amdhsa_exception_int_div_zero 0
	.end_amdhsa_kernel
	.text
.Lfunc_end0:
	.size	fft_rtc_fwd_len1176_factors_2_2_2_3_7_7_wgs_56_tpt_56_halfLds_dp_op_CI_CI_sbrr_dirReg, .Lfunc_end0-fft_rtc_fwd_len1176_factors_2_2_2_3_7_7_wgs_56_tpt_56_halfLds_dp_op_CI_CI_sbrr_dirReg
                                        ; -- End function
	.section	.AMDGPU.csdata,"",@progbits
; Kernel info:
; codeLenInByte = 16396
; NumSgprs: 45
; NumVgprs: 201
; ScratchSize: 0
; MemoryBound: 1
; FloatMode: 240
; IeeeMode: 1
; LDSByteSize: 0 bytes/workgroup (compile time only)
; SGPRBlocks: 5
; VGPRBlocks: 25
; NumSGPRsForWavesPerEU: 45
; NumVGPRsForWavesPerEU: 201
; Occupancy: 7
; WaveLimiterHint : 1
; COMPUTE_PGM_RSRC2:SCRATCH_EN: 0
; COMPUTE_PGM_RSRC2:USER_SGPR: 2
; COMPUTE_PGM_RSRC2:TRAP_HANDLER: 0
; COMPUTE_PGM_RSRC2:TGID_X_EN: 1
; COMPUTE_PGM_RSRC2:TGID_Y_EN: 0
; COMPUTE_PGM_RSRC2:TGID_Z_EN: 0
; COMPUTE_PGM_RSRC2:TIDIG_COMP_CNT: 0
	.text
	.p2alignl 7, 3214868480
	.fill 96, 4, 3214868480
	.type	__hip_cuid_298c25143a70516f,@object ; @__hip_cuid_298c25143a70516f
	.section	.bss,"aw",@nobits
	.globl	__hip_cuid_298c25143a70516f
__hip_cuid_298c25143a70516f:
	.byte	0                               ; 0x0
	.size	__hip_cuid_298c25143a70516f, 1

	.ident	"AMD clang version 19.0.0git (https://github.com/RadeonOpenCompute/llvm-project roc-6.4.0 25133 c7fe45cf4b819c5991fe208aaa96edf142730f1d)"
	.section	".note.GNU-stack","",@progbits
	.addrsig
	.addrsig_sym __hip_cuid_298c25143a70516f
	.amdgpu_metadata
---
amdhsa.kernels:
  - .args:
      - .actual_access:  read_only
        .address_space:  global
        .offset:         0
        .size:           8
        .value_kind:     global_buffer
      - .offset:         8
        .size:           8
        .value_kind:     by_value
      - .actual_access:  read_only
        .address_space:  global
        .offset:         16
        .size:           8
        .value_kind:     global_buffer
      - .actual_access:  read_only
        .address_space:  global
        .offset:         24
        .size:           8
        .value_kind:     global_buffer
      - .actual_access:  read_only
        .address_space:  global
        .offset:         32
        .size:           8
        .value_kind:     global_buffer
      - .offset:         40
        .size:           8
        .value_kind:     by_value
      - .actual_access:  read_only
        .address_space:  global
        .offset:         48
        .size:           8
        .value_kind:     global_buffer
      - .actual_access:  read_only
        .address_space:  global
        .offset:         56
        .size:           8
        .value_kind:     global_buffer
      - .offset:         64
        .size:           4
        .value_kind:     by_value
      - .actual_access:  read_only
        .address_space:  global
        .offset:         72
        .size:           8
        .value_kind:     global_buffer
      - .actual_access:  read_only
        .address_space:  global
        .offset:         80
        .size:           8
        .value_kind:     global_buffer
      - .actual_access:  read_only
        .address_space:  global
        .offset:         88
        .size:           8
        .value_kind:     global_buffer
      - .actual_access:  write_only
        .address_space:  global
        .offset:         96
        .size:           8
        .value_kind:     global_buffer
    .group_segment_fixed_size: 0
    .kernarg_segment_align: 8
    .kernarg_segment_size: 104
    .language:       OpenCL C
    .language_version:
      - 2
      - 0
    .max_flat_workgroup_size: 56
    .name:           fft_rtc_fwd_len1176_factors_2_2_2_3_7_7_wgs_56_tpt_56_halfLds_dp_op_CI_CI_sbrr_dirReg
    .private_segment_fixed_size: 0
    .sgpr_count:     45
    .sgpr_spill_count: 0
    .symbol:         fft_rtc_fwd_len1176_factors_2_2_2_3_7_7_wgs_56_tpt_56_halfLds_dp_op_CI_CI_sbrr_dirReg.kd
    .uniform_work_group_size: 1
    .uses_dynamic_stack: false
    .vgpr_count:     201
    .vgpr_spill_count: 0
    .wavefront_size: 32
    .workgroup_processor_mode: 1
amdhsa.target:   amdgcn-amd-amdhsa--gfx1201
amdhsa.version:
  - 1
  - 2
...

	.end_amdgpu_metadata
